;; amdgpu-corpus repo=ROCm/rocFFT kind=compiled arch=gfx1030 opt=O3
	.text
	.amdgcn_target "amdgcn-amd-amdhsa--gfx1030"
	.amdhsa_code_object_version 6
	.protected	fft_rtc_fwd_len2025_factors_3_3_5_5_3_3_wgs_135_tpt_135_halfLds_dp_op_CI_CI_sbrr_dirReg ; -- Begin function fft_rtc_fwd_len2025_factors_3_3_5_5_3_3_wgs_135_tpt_135_halfLds_dp_op_CI_CI_sbrr_dirReg
	.globl	fft_rtc_fwd_len2025_factors_3_3_5_5_3_3_wgs_135_tpt_135_halfLds_dp_op_CI_CI_sbrr_dirReg
	.p2align	8
	.type	fft_rtc_fwd_len2025_factors_3_3_5_5_3_3_wgs_135_tpt_135_halfLds_dp_op_CI_CI_sbrr_dirReg,@function
fft_rtc_fwd_len2025_factors_3_3_5_5_3_3_wgs_135_tpt_135_halfLds_dp_op_CI_CI_sbrr_dirReg: ; @fft_rtc_fwd_len2025_factors_3_3_5_5_3_3_wgs_135_tpt_135_halfLds_dp_op_CI_CI_sbrr_dirReg
; %bb.0:
	s_clause 0x2
	s_load_dwordx4 s[16:19], s[4:5], 0x18
	s_load_dwordx4 s[12:15], s[4:5], 0x0
	;; [unrolled: 1-line block ×3, first 2 shown]
	v_mul_u32_u24_e32 v2, 0x1e6, v0
	v_mov_b32_e32 v1, 0
	v_mov_b32_e32 v4, 0
	;; [unrolled: 1-line block ×3, first 2 shown]
	s_waitcnt lgkmcnt(0)
	s_load_dwordx2 s[20:21], s[16:17], 0x0
	s_load_dwordx2 s[2:3], s[18:19], 0x0
	v_cmp_lt_u64_e64 s0, s[14:15], 2
	v_add_nc_u32_sdwa v6, s6, v2 dst_sel:DWORD dst_unused:UNUSED_PAD src0_sel:DWORD src1_sel:WORD_1
	v_mov_b32_e32 v7, v1
	s_and_b32 vcc_lo, exec_lo, s0
	s_cbranch_vccnz .LBB0_8
; %bb.1:
	s_load_dwordx2 s[0:1], s[4:5], 0x10
	v_mov_b32_e32 v4, 0
	v_mov_b32_e32 v5, 0
	s_add_u32 s6, s18, 8
	s_addc_u32 s7, s19, 0
	s_add_u32 s22, s16, 8
	s_addc_u32 s23, s17, 0
	v_mov_b32_e32 v61, v5
	v_mov_b32_e32 v60, v4
	s_mov_b64 s[26:27], 1
	s_waitcnt lgkmcnt(0)
	s_add_u32 s24, s0, 8
	s_addc_u32 s25, s1, 0
.LBB0_2:                                ; =>This Inner Loop Header: Depth=1
	s_load_dwordx2 s[28:29], s[24:25], 0x0
                                        ; implicit-def: $vgpr62_vgpr63
	s_mov_b32 s0, exec_lo
	s_waitcnt lgkmcnt(0)
	v_or_b32_e32 v2, s29, v7
	v_cmpx_ne_u64_e32 0, v[1:2]
	s_xor_b32 s1, exec_lo, s0
	s_cbranch_execz .LBB0_4
; %bb.3:                                ;   in Loop: Header=BB0_2 Depth=1
	v_cvt_f32_u32_e32 v2, s28
	v_cvt_f32_u32_e32 v3, s29
	s_sub_u32 s0, 0, s28
	s_subb_u32 s30, 0, s29
	v_fmac_f32_e32 v2, 0x4f800000, v3
	v_rcp_f32_e32 v2, v2
	v_mul_f32_e32 v2, 0x5f7ffffc, v2
	v_mul_f32_e32 v3, 0x2f800000, v2
	v_trunc_f32_e32 v3, v3
	v_fmac_f32_e32 v2, 0xcf800000, v3
	v_cvt_u32_f32_e32 v3, v3
	v_cvt_u32_f32_e32 v2, v2
	v_mul_lo_u32 v8, s0, v3
	v_mul_hi_u32 v9, s0, v2
	v_mul_lo_u32 v10, s30, v2
	v_add_nc_u32_e32 v8, v9, v8
	v_mul_lo_u32 v9, s0, v2
	v_add_nc_u32_e32 v8, v8, v10
	v_mul_hi_u32 v10, v2, v9
	v_mul_lo_u32 v11, v2, v8
	v_mul_hi_u32 v12, v2, v8
	v_mul_hi_u32 v13, v3, v9
	v_mul_lo_u32 v9, v3, v9
	v_mul_hi_u32 v14, v3, v8
	v_mul_lo_u32 v8, v3, v8
	v_add_co_u32 v10, vcc_lo, v10, v11
	v_add_co_ci_u32_e32 v11, vcc_lo, 0, v12, vcc_lo
	v_add_co_u32 v9, vcc_lo, v10, v9
	v_add_co_ci_u32_e32 v9, vcc_lo, v11, v13, vcc_lo
	v_add_co_ci_u32_e32 v10, vcc_lo, 0, v14, vcc_lo
	v_add_co_u32 v8, vcc_lo, v9, v8
	v_add_co_ci_u32_e32 v9, vcc_lo, 0, v10, vcc_lo
	v_add_co_u32 v2, vcc_lo, v2, v8
	v_add_co_ci_u32_e32 v3, vcc_lo, v3, v9, vcc_lo
	v_mul_hi_u32 v8, s0, v2
	v_mul_lo_u32 v10, s30, v2
	v_mul_lo_u32 v9, s0, v3
	v_add_nc_u32_e32 v8, v8, v9
	v_mul_lo_u32 v9, s0, v2
	v_add_nc_u32_e32 v8, v8, v10
	v_mul_hi_u32 v10, v2, v9
	v_mul_lo_u32 v11, v2, v8
	v_mul_hi_u32 v12, v2, v8
	v_mul_hi_u32 v13, v3, v9
	v_mul_lo_u32 v9, v3, v9
	v_mul_hi_u32 v14, v3, v8
	v_mul_lo_u32 v8, v3, v8
	v_add_co_u32 v10, vcc_lo, v10, v11
	v_add_co_ci_u32_e32 v11, vcc_lo, 0, v12, vcc_lo
	v_add_co_u32 v9, vcc_lo, v10, v9
	v_add_co_ci_u32_e32 v9, vcc_lo, v11, v13, vcc_lo
	v_add_co_ci_u32_e32 v10, vcc_lo, 0, v14, vcc_lo
	v_add_co_u32 v8, vcc_lo, v9, v8
	v_add_co_ci_u32_e32 v9, vcc_lo, 0, v10, vcc_lo
	v_add_co_u32 v8, vcc_lo, v2, v8
	v_add_co_ci_u32_e32 v10, vcc_lo, v3, v9, vcc_lo
	v_mul_hi_u32 v12, v6, v8
	v_mad_u64_u32 v[8:9], null, v7, v8, 0
	v_mad_u64_u32 v[2:3], null, v6, v10, 0
	v_mad_u64_u32 v[10:11], null, v7, v10, 0
	v_add_co_u32 v2, vcc_lo, v12, v2
	v_add_co_ci_u32_e32 v3, vcc_lo, 0, v3, vcc_lo
	v_add_co_u32 v2, vcc_lo, v2, v8
	v_add_co_ci_u32_e32 v2, vcc_lo, v3, v9, vcc_lo
	v_add_co_ci_u32_e32 v3, vcc_lo, 0, v11, vcc_lo
	v_add_co_u32 v8, vcc_lo, v2, v10
	v_add_co_ci_u32_e32 v9, vcc_lo, 0, v3, vcc_lo
	v_mul_lo_u32 v10, s29, v8
	v_mad_u64_u32 v[2:3], null, s28, v8, 0
	v_mul_lo_u32 v11, s28, v9
	v_sub_co_u32 v2, vcc_lo, v6, v2
	v_add3_u32 v3, v3, v11, v10
	v_sub_nc_u32_e32 v10, v7, v3
	v_subrev_co_ci_u32_e64 v10, s0, s29, v10, vcc_lo
	v_add_co_u32 v11, s0, v8, 2
	v_add_co_ci_u32_e64 v12, s0, 0, v9, s0
	v_sub_co_u32 v13, s0, v2, s28
	v_sub_co_ci_u32_e32 v3, vcc_lo, v7, v3, vcc_lo
	v_subrev_co_ci_u32_e64 v10, s0, 0, v10, s0
	v_cmp_le_u32_e32 vcc_lo, s28, v13
	v_cmp_eq_u32_e64 s0, s29, v3
	v_cndmask_b32_e64 v13, 0, -1, vcc_lo
	v_cmp_le_u32_e32 vcc_lo, s29, v10
	v_cndmask_b32_e64 v14, 0, -1, vcc_lo
	v_cmp_le_u32_e32 vcc_lo, s28, v2
	;; [unrolled: 2-line block ×3, first 2 shown]
	v_cndmask_b32_e64 v15, 0, -1, vcc_lo
	v_cmp_eq_u32_e32 vcc_lo, s29, v10
	v_cndmask_b32_e64 v2, v15, v2, s0
	v_cndmask_b32_e32 v10, v14, v13, vcc_lo
	v_add_co_u32 v13, vcc_lo, v8, 1
	v_add_co_ci_u32_e32 v14, vcc_lo, 0, v9, vcc_lo
	v_cmp_ne_u32_e32 vcc_lo, 0, v10
	v_cndmask_b32_e32 v3, v14, v12, vcc_lo
	v_cndmask_b32_e32 v10, v13, v11, vcc_lo
	v_cmp_ne_u32_e32 vcc_lo, 0, v2
	v_cndmask_b32_e32 v63, v9, v3, vcc_lo
	v_cndmask_b32_e32 v62, v8, v10, vcc_lo
.LBB0_4:                                ;   in Loop: Header=BB0_2 Depth=1
	s_andn2_saveexec_b32 s0, s1
	s_cbranch_execz .LBB0_6
; %bb.5:                                ;   in Loop: Header=BB0_2 Depth=1
	v_cvt_f32_u32_e32 v2, s28
	s_sub_i32 s1, 0, s28
	v_mov_b32_e32 v63, v1
	v_rcp_iflag_f32_e32 v2, v2
	v_mul_f32_e32 v2, 0x4f7ffffe, v2
	v_cvt_u32_f32_e32 v2, v2
	v_mul_lo_u32 v3, s1, v2
	v_mul_hi_u32 v3, v2, v3
	v_add_nc_u32_e32 v2, v2, v3
	v_mul_hi_u32 v2, v6, v2
	v_mul_lo_u32 v3, v2, s28
	v_add_nc_u32_e32 v8, 1, v2
	v_sub_nc_u32_e32 v3, v6, v3
	v_subrev_nc_u32_e32 v9, s28, v3
	v_cmp_le_u32_e32 vcc_lo, s28, v3
	v_cndmask_b32_e32 v3, v3, v9, vcc_lo
	v_cndmask_b32_e32 v2, v2, v8, vcc_lo
	v_cmp_le_u32_e32 vcc_lo, s28, v3
	v_add_nc_u32_e32 v8, 1, v2
	v_cndmask_b32_e32 v62, v2, v8, vcc_lo
.LBB0_6:                                ;   in Loop: Header=BB0_2 Depth=1
	s_or_b32 exec_lo, exec_lo, s0
	v_mul_lo_u32 v8, v63, s28
	v_mul_lo_u32 v9, v62, s29
	s_load_dwordx2 s[0:1], s[22:23], 0x0
	v_mad_u64_u32 v[2:3], null, v62, s28, 0
	s_load_dwordx2 s[28:29], s[6:7], 0x0
	s_add_u32 s26, s26, 1
	s_addc_u32 s27, s27, 0
	s_add_u32 s6, s6, 8
	s_addc_u32 s7, s7, 0
	s_add_u32 s22, s22, 8
	v_add3_u32 v3, v3, v9, v8
	v_sub_co_u32 v2, vcc_lo, v6, v2
	s_addc_u32 s23, s23, 0
	s_add_u32 s24, s24, 8
	v_sub_co_ci_u32_e32 v3, vcc_lo, v7, v3, vcc_lo
	s_addc_u32 s25, s25, 0
	s_waitcnt lgkmcnt(0)
	v_mul_lo_u32 v6, s0, v3
	v_mul_lo_u32 v7, s1, v2
	v_mad_u64_u32 v[4:5], null, s0, v2, v[4:5]
	v_mul_lo_u32 v3, s28, v3
	v_mul_lo_u32 v8, s29, v2
	v_mad_u64_u32 v[60:61], null, s28, v2, v[60:61]
	v_cmp_ge_u64_e64 s0, s[26:27], s[14:15]
	v_add3_u32 v5, v7, v5, v6
	v_add3_u32 v61, v8, v61, v3
	s_and_b32 vcc_lo, exec_lo, s0
	s_cbranch_vccnz .LBB0_9
; %bb.7:                                ;   in Loop: Header=BB0_2 Depth=1
	v_mov_b32_e32 v6, v62
	v_mov_b32_e32 v7, v63
	s_branch .LBB0_2
.LBB0_8:
	v_mov_b32_e32 v61, v5
	v_mov_b32_e32 v63, v7
	;; [unrolled: 1-line block ×4, first 2 shown]
.LBB0_9:
	s_load_dwordx2 s[0:1], s[4:5], 0x28
	v_mul_hi_u32 v1, 0x1e573ad, v0
	s_lshl_b64 s[4:5], s[14:15], 3
                                        ; implicit-def: $vgpr74
                                        ; implicit-def: $vgpr75
                                        ; implicit-def: $vgpr76
                                        ; implicit-def: $vgpr77
                                        ; implicit-def: $vgpr92
	s_add_u32 s14, s18, s4
	s_addc_u32 s15, s19, s5
	s_waitcnt lgkmcnt(0)
	v_cmp_gt_u64_e32 vcc_lo, s[0:1], v[62:63]
	v_cmp_le_u64_e64 s0, s[0:1], v[62:63]
	s_and_saveexec_b32 s1, s0
	s_xor_b32 s0, exec_lo, s1
; %bb.10:
	v_mul_u32_u24_e32 v1, 0x87, v1
                                        ; implicit-def: $vgpr4_vgpr5
	v_sub_nc_u32_e32 v74, v0, v1
                                        ; implicit-def: $vgpr1
                                        ; implicit-def: $vgpr0
	v_add_nc_u32_e32 v75, 0x87, v74
	v_add_nc_u32_e32 v76, 0x10e, v74
	;; [unrolled: 1-line block ×4, first 2 shown]
; %bb.11:
	s_or_saveexec_b32 s1, s0
                                        ; implicit-def: $vgpr22_vgpr23
                                        ; implicit-def: $vgpr18_vgpr19
                                        ; implicit-def: $vgpr26_vgpr27
                                        ; implicit-def: $vgpr38_vgpr39
                                        ; implicit-def: $vgpr42_vgpr43
                                        ; implicit-def: $vgpr34_vgpr35
                                        ; implicit-def: $vgpr46_vgpr47
                                        ; implicit-def: $vgpr30_vgpr31
                                        ; implicit-def: $vgpr50_vgpr51
                                        ; implicit-def: $vgpr54_vgpr55
                                        ; implicit-def: $vgpr58_vgpr59
                                        ; implicit-def: $vgpr2_vgpr3
                                        ; implicit-def: $vgpr10_vgpr11
                                        ; implicit-def: $vgpr14_vgpr15
                                        ; implicit-def: $vgpr6_vgpr7
	s_xor_b32 exec_lo, exec_lo, s1
	s_cbranch_execz .LBB0_13
; %bb.12:
	s_add_u32 s4, s16, s4
	s_addc_u32 s5, s17, s5
	v_mul_u32_u24_e32 v1, 0x87, v1
	s_load_dwordx2 s[4:5], s[4:5], 0x0
	v_lshlrev_b64 v[4:5], 4, v[4:5]
	v_sub_nc_u32_e32 v74, v0, v1
	v_add_nc_u32_e32 v14, 0x2a3, v74
	v_add_nc_u32_e32 v15, 0x546, v74
	v_mad_u64_u32 v[0:1], null, s20, v74, 0
	v_add_nc_u32_e32 v75, 0x87, v74
	v_mad_u64_u32 v[2:3], null, s20, v14, 0
	v_mad_u64_u32 v[6:7], null, s20, v15, 0
	;; [unrolled: 1-line block ×3, first 2 shown]
	s_waitcnt lgkmcnt(0)
	v_mul_lo_u32 v16, s5, v62
	v_mul_lo_u32 v17, s4, v63
	v_mad_u64_u32 v[10:11], null, s4, v62, 0
	v_mad_u64_u32 v[12:13], null, s21, v74, v[1:2]
	v_mov_b32_e32 v1, v3
	v_mov_b32_e32 v3, v7
	;; [unrolled: 1-line block ×3, first 2 shown]
	v_add_nc_u32_e32 v20, 0x32a, v74
	v_add3_u32 v11, v11, v17, v16
	v_mad_u64_u32 v[13:14], null, s21, v14, v[1:2]
	v_mad_u64_u32 v[14:15], null, s21, v15, v[3:4]
	v_lshlrev_b64 v[9:10], 4, v[10:11]
	v_mov_b32_e32 v1, v12
	v_mad_u64_u32 v[11:12], null, s21, v75, v[7:8]
	v_mov_b32_e32 v3, v13
	v_mad_u64_u32 v[16:17], null, s20, v20, 0
	v_add_co_u32 v9, s0, s8, v9
	v_add_co_ci_u32_e64 v10, s0, s9, v10, s0
	v_lshlrev_b64 v[0:1], 4, v[0:1]
	v_mov_b32_e32 v7, v14
	v_add_co_u32 v43, s0, v9, v4
	v_add_co_ci_u32_e64 v64, s0, v10, v5, s0
	v_lshlrev_b64 v[2:3], 4, v[2:3]
	v_add_co_u32 v0, s0, v43, v0
	v_lshlrev_b64 v[4:5], 4, v[6:7]
	v_add_nc_u32_e32 v12, 0x5cd, v74
	v_add_co_ci_u32_e64 v1, s0, v64, v1, s0
	v_add_co_u32 v2, s0, v43, v2
	v_mov_b32_e32 v9, v11
	v_add_co_ci_u32_e64 v3, s0, v64, v3, s0
	v_add_co_u32 v10, s0, v43, v4
	v_mad_u64_u32 v[18:19], null, s20, v12, 0
	v_add_co_ci_u32_e64 v11, s0, v64, v5, s0
	v_lshlrev_b64 v[5:6], 4, v[8:9]
	v_mov_b32_e32 v4, v17
	v_add_nc_u32_e32 v76, 0x10e, v74
	v_add_nc_u32_e32 v28, 0x3b1, v74
	;; [unrolled: 1-line block ×4, first 2 shown]
	v_mad_u64_u32 v[7:8], null, s21, v20, v[4:5]
	v_mov_b32_e32 v4, v19
	v_mad_u64_u32 v[22:23], null, s20, v76, 0
	v_add_co_u32 v20, s0, v43, v5
	v_mad_u64_u32 v[24:25], null, s21, v12, v[4:5]
	v_add_co_ci_u32_e64 v21, s0, v64, v6, s0
	v_mov_b32_e32 v17, v7
	s_clause 0x3
	global_load_dwordx4 v[4:7], v[0:1], off
	global_load_dwordx4 v[12:15], v[2:3], off
	;; [unrolled: 1-line block ×4, first 2 shown]
	v_mov_b32_e32 v20, v23
	v_mad_u64_u32 v[26:27], null, s20, v30, 0
	v_mov_b32_e32 v19, v24
	v_mad_u64_u32 v[24:25], null, s20, v28, 0
	v_mad_u64_u32 v[20:21], null, s21, v76, v[20:21]
	v_lshlrev_b64 v[16:17], 4, v[16:17]
	v_lshlrev_b64 v[18:19], 4, v[18:19]
	v_add_nc_u32_e32 v34, 0x438, v74
	v_add_nc_u32_e32 v36, 0x6db, v74
	;; [unrolled: 1-line block ×4, first 2 shown]
	v_mov_b32_e32 v23, v20
	v_mov_b32_e32 v20, v25
	v_add_co_u32 v16, s0, v43, v16
	v_add_co_ci_u32_e64 v17, s0, v64, v17, s0
	v_mad_u64_u32 v[20:21], null, s21, v28, v[20:21]
	v_mad_u64_u32 v[28:29], null, s20, v77, 0
	v_lshlrev_b64 v[22:23], 4, v[22:23]
	v_mov_b32_e32 v21, v27
	v_add_co_u32 v18, s0, v43, v18
	v_add_co_ci_u32_e64 v19, s0, v64, v19, s0
	v_mov_b32_e32 v25, v20
	v_mad_u64_u32 v[20:21], null, s21, v30, v[21:22]
	v_mov_b32_e32 v21, v29
	v_mad_u64_u32 v[30:31], null, s20, v34, 0
	v_add_co_u32 v22, s0, v43, v22
	v_lshlrev_b64 v[24:25], 4, v[24:25]
	v_mov_b32_e32 v27, v20
	v_add_co_ci_u32_e64 v23, s0, v64, v23, s0
	v_mad_u64_u32 v[32:33], null, s21, v77, v[21:22]
	v_mov_b32_e32 v20, v31
	v_lshlrev_b64 v[26:27], 4, v[26:27]
	v_add_co_u32 v24, s0, v43, v24
	v_add_co_ci_u32_e64 v25, s0, v64, v25, s0
	v_mov_b32_e32 v29, v32
	v_mad_u64_u32 v[20:21], null, s21, v34, v[20:21]
	v_mad_u64_u32 v[32:33], null, s20, v36, 0
	v_lshlrev_b64 v[28:29], 4, v[28:29]
	v_mad_u64_u32 v[34:35], null, s20, v92, 0
	v_add_co_u32 v26, s0, v43, v26
	v_mov_b32_e32 v31, v20
	v_add_co_ci_u32_e64 v27, s0, v64, v27, s0
	v_add_co_u32 v20, s0, v43, v28
	v_add_co_ci_u32_e64 v21, s0, v64, v29, s0
	v_lshlrev_b64 v[29:30], 4, v[30:31]
	v_mov_b32_e32 v28, v33
	v_mov_b32_e32 v31, v35
	v_add_nc_u32_e32 v45, 0x762, v74
	s_clause 0x1
	global_load_dwordx4 v[56:59], v[16:17], off
	global_load_dwordx4 v[52:55], v[18:19], off
	v_mad_u64_u32 v[35:36], null, s21, v36, v[28:29]
	v_mad_u64_u32 v[36:37], null, s21, v92, v[31:32]
	;; [unrolled: 1-line block ×4, first 2 shown]
	v_mov_b32_e32 v33, v35
	v_add_co_u32 v39, s0, v43, v29
	v_add_co_ci_u32_e64 v40, s0, v64, v30, s0
	v_mov_b32_e32 v28, v38
	v_lshlrev_b64 v[18:19], 4, v[32:33]
	v_mov_b32_e32 v35, v36
	v_mad_u64_u32 v[16:17], null, s21, v44, v[28:29]
	v_mov_b32_e32 v17, v42
	s_clause 0x1
	global_load_dwordx4 v[48:51], v[22:23], off
	global_load_dwordx4 v[28:31], v[24:25], off
	v_mad_u64_u32 v[22:23], null, s21, v45, v[17:18]
	v_lshlrev_b64 v[23:24], 4, v[34:35]
	v_mov_b32_e32 v38, v16
	v_add_co_u32 v16, s0, v43, v18
	v_add_co_ci_u32_e64 v17, s0, v64, v19, s0
	v_mov_b32_e32 v42, v22
	v_lshlrev_b64 v[18:19], 4, v[37:38]
	v_add_co_u32 v22, s0, v43, v23
	v_add_co_ci_u32_e64 v23, s0, v64, v24, s0
	v_lshlrev_b64 v[24:25], 4, v[41:42]
	v_add_co_u32 v18, s0, v43, v18
	v_add_co_ci_u32_e64 v19, s0, v64, v19, s0
	s_clause 0x1
	global_load_dwordx4 v[44:47], v[26:27], off
	global_load_dwordx4 v[32:35], v[20:21], off
	v_add_co_u32 v20, s0, v43, v24
	v_add_co_ci_u32_e64 v21, s0, v64, v25, s0
	s_clause 0x4
	global_load_dwordx4 v[40:43], v[39:40], off
	global_load_dwordx4 v[36:39], v[16:17], off
	;; [unrolled: 1-line block ×5, first 2 shown]
.LBB0_13:
	s_or_b32 exec_lo, exec_lo, s1
	s_waitcnt vmcnt(12)
	v_add_f64 v[68:69], v[8:9], v[12:13]
	v_add_f64 v[66:67], v[14:15], v[6:7]
	s_waitcnt vmcnt(9)
	v_add_f64 v[80:81], v[52:53], v[56:57]
	s_waitcnt vmcnt(6)
	;; [unrolled: 2-line block ×3, first 2 shown]
	v_add_f64 v[90:91], v[36:37], v[40:41]
	v_add_f64 v[64:65], v[12:13], v[4:5]
	;; [unrolled: 1-line block ×4, first 2 shown]
	s_waitcnt vmcnt(0)
	v_add_f64 v[93:94], v[20:21], v[16:17]
	v_add_f64 v[78:79], v[58:59], v[2:3]
	v_add_f64 v[14:15], v[14:15], -v[10:11]
	v_add_f64 v[82:83], v[54:55], v[58:59]
	v_add_f64 v[84:85], v[28:29], v[48:49]
	;; [unrolled: 1-line block ×4, first 2 shown]
	v_add_f64 v[58:59], v[58:59], -v[54:55]
	v_add_f64 v[30:31], v[30:31], -v[46:47]
	v_add_f64 v[12:13], v[12:13], -v[8:9]
	v_add_f64 v[56:57], v[56:57], -v[52:53]
	s_mov_b32 s4, 0xe8584caa
	s_mov_b32 s5, 0x3febb67a
	;; [unrolled: 1-line block ×3, first 2 shown]
	v_fma_f64 v[4:5], v[68:69], -0.5, v[4:5]
	v_add_f64 v[97:98], v[10:11], v[66:67]
	v_fma_f64 v[0:1], v[80:81], -0.5, v[0:1]
	v_fma_f64 v[10:11], v[86:87], -0.5, v[48:49]
	v_add_f64 v[48:49], v[40:41], v[32:33]
	v_add_f64 v[68:69], v[42:43], -v[38:39]
	v_fma_f64 v[32:33], v[90:91], -0.5, v[32:33]
	v_add_f64 v[8:9], v[8:9], v[64:65]
	v_fma_f64 v[64:65], v[70:71], -0.5, v[6:7]
	v_add_f64 v[6:7], v[52:53], v[72:73]
	v_fma_f64 v[70:71], v[93:94], -0.5, v[24:25]
	v_add_f64 v[72:73], v[18:19], -v[22:23]
	v_add_f64 v[24:25], v[16:17], v[24:25]
	v_add_f64 v[66:67], v[42:43], v[34:35]
	;; [unrolled: 1-line block ×6, first 2 shown]
	s_mov_b32 s6, s4
	v_fma_f64 v[54:55], v[82:83], -0.5, v[2:3]
	v_add_f64 v[2:3], v[44:45], v[84:85]
	v_add_f64 v[28:29], v[28:29], -v[44:45]
	v_fma_f64 v[80:81], v[14:15], s[4:5], v[4:5]
	v_fma_f64 v[4:5], v[14:15], s[6:7], v[4:5]
	;; [unrolled: 1-line block ×8, first 2 shown]
	v_add_f64 v[40:41], v[40:41], -v[36:37]
	v_add_f64 v[36:37], v[36:37], v[48:49]
	v_fma_f64 v[50:51], v[95:96], -0.5, v[50:51]
	v_fma_f64 v[48:49], v[72:73], s[4:5], v[70:71]
	v_add_f64 v[24:25], v[20:21], v[24:25]
	v_fma_f64 v[58:59], v[72:73], s[6:7], v[70:71]
	v_fma_f64 v[34:35], v[42:43], -0.5, v[34:35]
	v_mad_u32_u24 v100, v74, 24, 0
	v_add_f64 v[20:21], v[16:17], -v[20:21]
	v_fma_f64 v[26:27], v[18:19], -0.5, v[26:27]
	s_load_dwordx2 s[8:9], s[14:15], 0x0
	v_add_f64 v[22:23], v[22:23], v[78:79]
	v_mad_i32_i24 v78, v75, 24, 0
	v_mad_i32_i24 v79, v76, 24, 0
	ds_write2_b64 v100, v[8:9], v[80:81] offset1:1
	ds_write_b64 v100, v[4:5] offset:16
	v_mad_i32_i24 v80, v77, 24, 0
	v_mad_i32_i24 v81, v92, 24, 0
	ds_write2_b64 v78, v[6:7], v[14:15] offset1:1
	ds_write_b64 v78, v[0:1] offset:16
	ds_write2_b64 v79, v[2:3], v[44:45] offset1:1
	ds_write_b64 v79, v[10:11] offset:16
	;; [unrolled: 2-line block ×4, first 2 shown]
	v_fma_f64 v[24:25], v[12:13], s[6:7], v[64:65]
	v_fma_f64 v[32:33], v[56:57], s[6:7], v[54:55]
	;; [unrolled: 1-line block ×3, first 2 shown]
	v_lshlrev_b32_e32 v0, 4, v74
	v_fma_f64 v[36:37], v[56:57], s[4:5], v[54:55]
	v_fma_f64 v[42:43], v[28:29], s[6:7], v[50:51]
	;; [unrolled: 1-line block ×3, first 2 shown]
	v_add_f64 v[46:47], v[46:47], v[88:89]
	v_add_f64 v[38:39], v[38:39], v[66:67]
	v_fma_f64 v[44:45], v[40:41], s[6:7], v[34:35]
	v_sub_nc_u32_e32 v82, v100, v0
	v_lshlrev_b32_e32 v89, 4, v92
	v_and_b32_e32 v99, 0xff, v74
	v_fma_f64 v[34:35], v[40:41], s[4:5], v[34:35]
	v_lshlrev_b32_e32 v86, 4, v75
	v_fma_f64 v[40:41], v[20:21], s[6:7], v[26:27]
	v_lshlrev_b32_e32 v87, 4, v76
	v_lshlrev_b32_e32 v88, 4, v77
	v_add_nc_u32_e32 v83, 0x1400, v82
	v_add_nc_u32_e32 v91, 0x2400, v82
	;; [unrolled: 1-line block ×4, first 2 shown]
	v_sub_nc_u32_e32 v96, v81, v89
	v_mul_lo_u16 v48, 0xab, v99
	v_mov_b32_e32 v49, 0xaaab
	v_sub_nc_u32_e32 v93, v78, v86
	v_add_nc_u32_e32 v90, 0x3400, v82
	v_sub_nc_u32_e32 v94, v79, v87
	v_sub_nc_u32_e32 v95, v80, v88
	v_fma_f64 v[20:21], v[20:21], s[4:5], v[26:27]
	s_waitcnt lgkmcnt(0)
	s_barrier
	buffer_gl0_inv
	ds_read2_b64 v[8:11], v83 offset0:35 offset1:170
	ds_read2_b64 v[0:3], v91 offset0:63 offset1:198
	;; [unrolled: 1-line block ×3, first 2 shown]
	ds_read_b64 v[72:73], v82
	ds_read_b64 v[70:71], v93
	;; [unrolled: 1-line block ×5, first 2 shown]
	ds_read2_b64 v[16:19], v85 offset0:49 offset1:184
	ds_read2_b64 v[12:15], v90 offset0:91 offset1:226
	s_waitcnt lgkmcnt(0)
	s_barrier
	v_lshrrev_b16 v108, 9, v48
	buffer_gl0_inv
	v_mul_u32_u24_sdwa v26, v75, v49 dst_sel:DWORD dst_unused:UNUSED_PAD src0_sel:WORD_0 src1_sel:DWORD
	ds_write2_b64 v100, v[97:98], v[24:25] offset1:1
	ds_write_b64 v100, v[30:31] offset:16
	ds_write2_b64 v78, v[52:53], v[32:33] offset1:1
	v_mul_u32_u24_sdwa v25, v76, v49 dst_sel:DWORD dst_unused:UNUSED_PAD src0_sel:WORD_0 src1_sel:DWORD
	v_mul_u32_u24_sdwa v33, v77, v49 dst_sel:DWORD dst_unused:UNUSED_PAD src0_sel:WORD_0 src1_sel:DWORD
	v_mul_lo_u16 v24, v108, 3
	v_lshrrev_b32_e32 v111, 17, v26
	ds_write_b64 v78, v[36:37] offset:16
	ds_write2_b64 v79, v[46:47], v[42:43] offset1:1
	v_lshrrev_b32_e32 v112, 17, v25
	v_lshrrev_b32_e32 v114, 17, v33
	v_sub_nc_u16 v107, v74, v24
	v_mul_lo_u16 v24, v111, 3
	ds_write_b64 v79, v[28:29] offset:16
	ds_write2_b64 v80, v[38:39], v[44:45] offset1:1
	ds_write_b64 v80, v[34:35] offset:16
	ds_write2_b64 v81, v[22:23], v[40:41] offset1:1
	v_mul_lo_u16 v32, v112, 3
	v_mul_u32_u24_sdwa v33, v92, v49 dst_sel:DWORD dst_unused:UNUSED_PAD src0_sel:WORD_0 src1_sel:DWORD
	v_mul_lo_u16 v34, v114, 3
	v_mov_b32_e32 v97, 5
	v_sub_nc_u16 v110, v75, v24
	v_sub_nc_u16 v113, v76, v32
	v_lshrrev_b32_e32 v117, 17, v33
	v_sub_nc_u16 v115, v77, v34
	v_lshlrev_b32_sdwa v40, v97, v107 dst_sel:DWORD dst_unused:UNUSED_PAD src0_sel:DWORD src1_sel:BYTE_0
	v_lshlrev_b32_sdwa v24, v97, v110 dst_sel:DWORD dst_unused:UNUSED_PAD src0_sel:DWORD src1_sel:WORD_0
	v_lshlrev_b32_sdwa v32, v97, v113 dst_sel:DWORD dst_unused:UNUSED_PAD src0_sel:DWORD src1_sel:WORD_0
	v_mul_lo_u16 v36, v117, 3
	v_lshlrev_b32_sdwa v52, v97, v115 dst_sel:DWORD dst_unused:UNUSED_PAD src0_sel:DWORD src1_sel:WORD_0
	ds_write_b64 v81, v[20:21] offset:16
	s_waitcnt lgkmcnt(0)
	s_barrier
	buffer_gl0_inv
	s_clause 0x2
	global_load_dwordx4 v[20:23], v40, s[12:13]
	global_load_dwordx4 v[28:31], v24, s[12:13]
	global_load_dwordx4 v[48:51], v32, s[12:13] offset:16
	v_sub_nc_u16 v116, v92, v36
	s_clause 0x2
	global_load_dwordx4 v[36:39], v52, s[12:13]
	global_load_dwordx4 v[32:35], v32, s[12:13]
	global_load_dwordx4 v[24:27], v24, s[12:13] offset:16
	v_mov_b32_e32 v140, 0xe38f
	v_lshlrev_b32_sdwa v56, v97, v116 dst_sel:DWORD dst_unused:UNUSED_PAD src0_sel:DWORD src1_sel:WORD_0
	s_clause 0x3
	global_load_dwordx4 v[40:43], v40, s[12:13] offset:16
	global_load_dwordx4 v[44:47], v56, s[12:13]
	global_load_dwordx4 v[52:55], v52, s[12:13] offset:16
	global_load_dwordx4 v[56:59], v56, s[12:13] offset:16
	ds_read2_b64 v[118:121], v83 offset0:35 offset1:170
	ds_read2_b64 v[122:125], v84 offset0:77 offset1:212
	;; [unrolled: 1-line block ×3, first 2 shown]
	v_mul_u32_u24_sdwa v106, v75, v140 dst_sel:DWORD dst_unused:UNUSED_PAD src0_sel:WORD_0 src1_sel:DWORD
	v_mov_b32_e32 v138, 0x48
	v_mov_b32_e32 v98, 3
	v_mul_u32_u24_e32 v139, 0x48, v111
	v_mul_u32_u24_e32 v141, 0x48, v112
	v_lshrrev_b32_e32 v106, 19, v106
	v_mul_u32_u24_sdwa v138, v108, v138 dst_sel:DWORD dst_unused:UNUSED_PAD src0_sel:WORD_0 src1_sel:DWORD
	v_lshlrev_b32_sdwa v110, v98, v110 dst_sel:DWORD dst_unused:UNUSED_PAD src0_sel:DWORD src1_sel:WORD_0
	v_lshlrev_b32_sdwa v113, v98, v113 dst_sel:DWORD dst_unused:UNUSED_PAD src0_sel:DWORD src1_sel:WORD_0
	v_mul_u32_u24_e32 v114, 0x48, v114
	v_lshlrev_b32_sdwa v115, v98, v115 dst_sel:DWORD dst_unused:UNUSED_PAD src0_sel:DWORD src1_sel:WORD_0
	v_mul_u32_u24_e32 v117, 0x48, v117
	v_lshlrev_b32_sdwa v116, v98, v116 dst_sel:DWORD dst_unused:UNUSED_PAD src0_sel:DWORD src1_sel:WORD_0
	v_add3_u32 v141, 0, v141, v113
	v_mul_lo_u16 v100, v99, 57
	v_add3_u32 v144, 0, v114, v115
	v_mov_b32_e32 v105, 6
	v_add3_u32 v145, 0, v117, v116
	v_add_nc_u32_e32 v103, 0x1800, v82
	v_lshrrev_b16 v109, 9, v100
	v_add_nc_u32_e32 v102, 0x2000, v82
	v_add_nc_u32_e32 v104, 0x3000, v82
	;; [unrolled: 1-line block ×4, first 2 shown]
	v_mul_lo_u16 v108, v109, 9
	v_mul_lo_u16 v99, 0x6d, v99
	s_mov_b32 s16, 0x134454ff
	s_mov_b32 s17, 0x3fee6f0e
	;; [unrolled: 1-line block ×3, first 2 shown]
	v_sub_nc_u16 v108, v74, v108
	v_lshrrev_b16 v99, 8, v99
	s_mov_b32 s18, s16
	s_mov_b32 s14, 0x4755a5e
	s_mov_b32 s15, 0x3fe2cf23
	s_mov_b32 s21, 0xbfe2cf23
	s_mov_b32 s20, s14
	s_mov_b32 s22, 0x372fe950
	s_mov_b32 s23, 0x3fd3c6ef
	v_cmp_gt_u32_e64 s0, 0x5a, v74
	s_waitcnt vmcnt(9) lgkmcnt(2)
	v_mul_f64 v[130:131], v[118:119], v[22:23]
	v_mul_f64 v[22:23], v[8:9], v[22:23]
	s_waitcnt vmcnt(8)
	v_mul_f64 v[132:133], v[120:121], v[30:31]
	v_mul_f64 v[30:31], v[10:11], v[30:31]
	s_waitcnt vmcnt(7) lgkmcnt(1)
	v_mul_f64 v[136:137], v[124:125], v[50:51]
	s_waitcnt vmcnt(4)
	v_mul_f64 v[134:135], v[122:123], v[26:27]
	v_mul_f64 v[26:27], v[4:5], v[26:27]
	v_fma_f64 v[130:131], v[8:9], v[20:21], -v[130:131]
	v_fma_f64 v[118:119], v[118:119], v[20:21], v[22:23]
	ds_read2_b64 v[20:23], v91 offset0:63 offset1:198
	v_fma_f64 v[132:133], v[10:11], v[28:29], -v[132:133]
	v_fma_f64 v[28:29], v[120:121], v[28:29], v[30:31]
	ds_read2_b64 v[8:11], v90 offset0:91 offset1:226
	v_fma_f64 v[4:5], v[4:5], v[24:25], -v[134:135]
	v_fma_f64 v[24:25], v[122:123], v[24:25], v[26:27]
	s_waitcnt lgkmcnt(2)
	v_mul_f64 v[26:27], v[128:129], v[38:39]
	v_mul_f64 v[30:31], v[6:7], v[50:51]
	v_mul_lo_u16 v120, v106, 9
	v_lshlrev_b32_sdwa v121, v98, v107 dst_sel:DWORD dst_unused:UNUSED_PAD src0_sel:DWORD src1_sel:BYTE_0
	v_mul_f64 v[50:51], v[126:127], v[34:35]
	v_mul_f64 v[34:35], v[16:17], v[34:35]
	;; [unrolled: 1-line block ×3, first 2 shown]
	v_sub_nc_u16 v107, v75, v120
	v_add3_u32 v142, 0, v138, v121
	v_fma_f64 v[6:7], v[6:7], v[48:49], -v[136:137]
	v_add3_u32 v136, 0, v139, v110
	v_lshlrev_b32_sdwa v137, v105, v108 dst_sel:DWORD dst_unused:UNUSED_PAD src0_sel:DWORD src1_sel:BYTE_0
	v_lshlrev_b32_sdwa v143, v105, v107 dst_sel:DWORD dst_unused:UNUSED_PAD src0_sel:DWORD src1_sel:WORD_0
	v_lshlrev_b32_sdwa v147, v98, v107 dst_sel:DWORD dst_unused:UNUSED_PAD src0_sel:DWORD src1_sel:WORD_0
	s_waitcnt vmcnt(3) lgkmcnt(1)
	v_mul_f64 v[111:112], v[22:23], v[42:43]
	v_mul_f64 v[42:43], v[2:3], v[42:43]
	s_waitcnt vmcnt(2)
	v_mul_f64 v[120:121], v[20:21], v[46:47]
	s_waitcnt vmcnt(1) lgkmcnt(0)
	v_mul_f64 v[122:123], v[8:9], v[54:55]
	s_waitcnt vmcnt(0)
	v_mul_f64 v[134:135], v[10:11], v[58:59]
	v_mul_f64 v[46:47], v[0:1], v[46:47]
	v_add_f64 v[114:115], v[132:133], -v[4:5]
	v_fma_f64 v[18:19], v[18:19], v[36:37], -v[26:27]
	v_mul_f64 v[26:27], v[12:13], v[54:55]
	v_fma_f64 v[30:31], v[124:125], v[48:49], v[30:31]
	v_mul_f64 v[48:49], v[14:15], v[58:59]
	v_fma_f64 v[16:17], v[16:17], v[32:33], -v[50:51]
	v_fma_f64 v[32:33], v[126:127], v[32:33], v[34:35]
	v_fma_f64 v[34:35], v[128:129], v[36:37], v[38:39]
	v_add_f64 v[36:37], v[72:73], v[130:131]
	v_add_f64 v[38:39], v[132:133], v[4:5]
	;; [unrolled: 1-line block ×3, first 2 shown]
	v_fma_f64 v[2:3], v[2:3], v[40:41], -v[111:112]
	v_fma_f64 v[22:23], v[22:23], v[40:41], v[42:43]
	v_fma_f64 v[0:1], v[0:1], v[44:45], -v[120:121]
	v_fma_f64 v[12:13], v[12:13], v[52:53], -v[122:123]
	v_fma_f64 v[14:15], v[14:15], v[56:57], -v[134:135]
	v_fma_f64 v[20:21], v[20:21], v[44:45], v[46:47]
	v_add_f64 v[40:41], v[70:71], v[132:133]
	ds_read_b64 v[50:51], v82
	ds_read_b64 v[54:55], v93
	;; [unrolled: 1-line block ×5, first 2 shown]
	s_waitcnt lgkmcnt(0)
	v_fma_f64 v[8:9], v[8:9], v[52:53], v[26:27]
	s_barrier
	v_fma_f64 v[10:11], v[10:11], v[56:57], v[48:49]
	v_add_f64 v[42:43], v[16:17], v[6:7]
	v_add_f64 v[44:45], v[66:67], v[16:17]
	;; [unrolled: 1-line block ×4, first 2 shown]
	v_fma_f64 v[38:39], v[38:39], -0.5, v[70:71]
	v_add_f64 v[16:17], v[16:17], -v[6:7]
	buffer_gl0_inv
	v_add_f64 v[26:27], v[130:131], v[2:3]
	v_add_f64 v[122:123], v[118:119], v[22:23]
	v_add_f64 v[52:53], v[130:131], -v[2:3]
	v_add_f64 v[46:47], v[18:19], v[12:13]
	v_add_f64 v[56:57], v[0:1], v[14:15]
	v_add_f64 v[120:121], v[50:51], v[118:119]
	v_add_f64 v[118:119], v[118:119], -v[22:23]
	v_add_f64 v[2:3], v[36:37], v[2:3]
	;; [unrolled: 4-line block ×3, first 2 shown]
	v_add_f64 v[70:71], v[112:113], v[20:21]
	v_add_f64 v[4:5], v[40:41], v[4:5]
	v_fma_f64 v[40:41], v[124:125], -0.5, v[54:55]
	v_add_f64 v[130:131], v[58:59], v[32:33]
	v_add_f64 v[32:33], v[32:33], -v[30:31]
	v_fma_f64 v[42:43], v[42:43], -0.5, v[66:67]
	v_add_f64 v[6:7], v[44:45], v[6:7]
	v_fma_f64 v[44:45], v[128:129], -0.5, v[58:59]
	v_add_f64 v[18:19], v[18:19], -v[12:13]
	v_add_f64 v[12:13], v[48:49], v[12:13]
	v_fma_f64 v[26:27], v[26:27], -0.5, v[72:73]
	v_fma_f64 v[36:37], v[122:123], -0.5, v[50:51]
	v_add_f64 v[72:73], v[110:111], v[34:35]
	v_add_f64 v[34:35], v[34:35], -v[8:9]
	v_fma_f64 v[46:47], v[46:47], -0.5, v[64:65]
	v_add_f64 v[116:117], v[68:69], v[0:1]
	v_add_f64 v[0:1], v[0:1], -v[14:15]
	v_add_f64 v[20:21], v[20:21], -v[10:11]
	v_fma_f64 v[56:57], v[56:57], -0.5, v[68:69]
	v_fma_f64 v[48:49], v[132:133], -0.5, v[110:111]
	v_add_f64 v[22:23], v[120:121], v[22:23]
	v_fma_f64 v[50:51], v[134:135], -0.5, v[112:113]
	v_add_f64 v[24:25], v[126:127], v[24:25]
	v_fma_f64 v[58:59], v[28:29], s[4:5], v[38:39]
	v_add_f64 v[66:67], v[70:71], v[10:11]
	v_fma_f64 v[70:71], v[114:115], s[6:7], v[40:41]
	v_fma_f64 v[28:29], v[28:29], s[6:7], v[38:39]
	v_add_f64 v[30:31], v[130:131], v[30:31]
	v_fma_f64 v[38:39], v[32:33], s[4:5], v[42:43]
	v_fma_f64 v[110:111], v[16:17], s[6:7], v[44:45]
	v_fma_f64 v[32:33], v[32:33], s[6:7], v[42:43]
	v_fma_f64 v[16:17], v[16:17], s[4:5], v[44:45]
	v_fma_f64 v[54:55], v[118:119], s[4:5], v[26:27]
	v_fma_f64 v[68:69], v[52:53], s[6:7], v[36:37]
	v_fma_f64 v[26:27], v[118:119], s[6:7], v[26:27]
	v_fma_f64 v[36:37], v[52:53], s[4:5], v[36:37]
	v_add_f64 v[64:65], v[72:73], v[8:9]
	v_fma_f64 v[72:73], v[114:115], s[4:5], v[40:41]
	v_fma_f64 v[42:43], v[34:35], s[4:5], v[46:47]
	;; [unrolled: 1-line block ×3, first 2 shown]
	v_add_f64 v[14:15], v[116:117], v[14:15]
	v_fma_f64 v[44:45], v[18:19], s[6:7], v[48:49]
	v_fma_f64 v[18:19], v[18:19], s[4:5], v[48:49]
	;; [unrolled: 1-line block ×6, first 2 shown]
	ds_write2_b64 v142, v[2:3], v[54:55] offset1:3
	ds_write_b64 v142, v[26:27] offset:48
	ds_write2_b64 v136, v[4:5], v[58:59] offset1:3
	ds_write_b64 v136, v[28:29] offset:48
	;; [unrolled: 2-line block ×5, first 2 shown]
	s_waitcnt lgkmcnt(0)
	s_barrier
	buffer_gl0_inv
	ds_read_b64 v[54:55], v82
	ds_read_b64 v[138:139], v95
	ds_read_b64 v[50:51], v94
	ds_read_b64 v[52:53], v93
	ds_read_b64 v[56:57], v82 offset:15120
	ds_read2_b64 v[40:43], v103 offset0:42 offset1:177
	ds_read2_b64 v[4:7], v102 offset0:56 offset1:191
	;; [unrolled: 1-line block ×5, first 2 shown]
	s_waitcnt lgkmcnt(0)
	s_barrier
	buffer_gl0_inv
	ds_write2_b64 v142, v[22:23], v[68:69] offset1:3
	ds_write_b64 v142, v[36:37] offset:48
	ds_write2_b64 v136, v[24:25], v[70:71] offset1:3
	ds_write_b64 v136, v[72:73] offset:48
	;; [unrolled: 2-line block ×5, first 2 shown]
	s_waitcnt lgkmcnt(0)
	s_barrier
	buffer_gl0_inv
	s_clause 0x2
	global_load_dwordx4 v[64:67], v137, s[12:13] offset:112
	global_load_dwordx4 v[110:113], v143, s[12:13] offset:112
	;; [unrolled: 1-line block ×3, first 2 shown]
	v_mul_u32_u24_sdwa v12, v76, v140 dst_sel:DWORD dst_unused:UNUSED_PAD src0_sel:WORD_0 src1_sel:DWORD
	s_clause 0x1
	global_load_dwordx4 v[118:121], v143, s[12:13] offset:144
	global_load_dwordx4 v[122:125], v137, s[12:13] offset:96
	v_lshrrev_b32_e32 v73, 19, v12
	v_mul_lo_u16 v12, v73, 9
	v_mul_u32_u24_e32 v146, 0x168, v73
	v_sub_nc_u16 v72, v76, v12
	v_lshlrev_b32_sdwa v36, v105, v72 dst_sel:DWORD dst_unused:UNUSED_PAD src0_sel:DWORD src1_sel:WORD_0
	s_clause 0x6
	global_load_dwordx4 v[16:19], v143, s[12:13] offset:96
	global_load_dwordx4 v[12:15], v36, s[12:13] offset:96
	;; [unrolled: 1-line block ×7, first 2 shown]
	ds_read2_b64 v[126:129], v103 offset0:42 offset1:177
	ds_read2_b64 v[130:133], v104 offset0:84 offset1:219
	ds_read_b64 v[140:141], v95
	ds_read2_b64 v[134:137], v101 offset0:28 offset1:163
	s_waitcnt vmcnt(11) lgkmcnt(3)
	v_mul_f64 v[44:45], v[126:127], v[66:67]
	v_mul_f64 v[58:59], v[40:41], v[66:67]
	s_waitcnt vmcnt(10)
	v_mul_f64 v[66:67], v[128:129], v[112:113]
	v_mul_f64 v[112:113], v[42:43], v[112:113]
	s_waitcnt vmcnt(9) lgkmcnt(2)
	v_mul_f64 v[142:143], v[130:131], v[116:117]
	v_mul_f64 v[116:117], v[46:47], v[116:117]
	s_waitcnt vmcnt(8)
	v_mul_f64 v[144:145], v[132:133], v[120:121]
	v_fma_f64 v[70:71], v[40:41], v[64:65], -v[44:45]
	v_mul_f64 v[40:41], v[48:49], v[120:121]
	v_fma_f64 v[64:65], v[126:127], v[64:65], v[58:59]
	v_fma_f64 v[68:69], v[42:43], v[110:111], -v[66:67]
	v_fma_f64 v[58:59], v[128:129], v[110:111], v[112:113]
	ds_read2_b64 v[110:113], v102 offset0:56 offset1:191
	ds_read2_b64 v[126:129], v100 offset0:70 offset1:205
	v_fma_f64 v[42:43], v[130:131], v[114:115], v[116:117]
	s_waitcnt vmcnt(6) lgkmcnt(2)
	v_mul_f64 v[116:117], v[134:135], v[18:19]
	v_fma_f64 v[44:45], v[48:49], v[118:119], -v[144:145]
	s_waitcnt vmcnt(5)
	v_mul_f64 v[120:121], v[136:137], v[14:15]
	v_fma_f64 v[46:47], v[46:47], v[114:115], -v[142:143]
	ds_read_b64 v[142:143], v82 offset:15120
	v_mul_f64 v[66:67], v[140:141], v[124:125]
	v_mul_f64 v[114:115], v[138:139], v[124:125]
	;; [unrolled: 1-line block ×3, first 2 shown]
	v_mov_b32_e32 v145, 0x2d83
	v_fma_f64 v[40:41], v[132:133], v[118:119], v[40:41]
	s_waitcnt vmcnt(3) lgkmcnt(2)
	v_mul_f64 v[118:119], v[110:111], v[22:23]
	s_waitcnt vmcnt(1) lgkmcnt(1)
	v_mul_f64 v[132:133], v[128:129], v[26:27]
	v_mul_f64 v[124:125], v[112:113], v[30:31]
	;; [unrolled: 1-line block ×3, first 2 shown]
	v_fma_f64 v[8:9], v[8:9], v[16:17], -v[116:117]
	v_fma_f64 v[116:117], v[10:11], v[12:13], -v[120:121]
	v_mul_f64 v[10:11], v[10:11], v[14:15]
	v_mul_f64 v[14:15], v[6:7], v[30:31]
	v_fma_f64 v[48:49], v[138:139], v[122:123], -v[66:67]
	v_fma_f64 v[66:67], v[140:141], v[122:123], v[114:115]
	v_fma_f64 v[16:17], v[134:135], v[16:17], v[18:19]
	ds_read_b64 v[114:115], v93
	ds_read_b64 v[122:123], v94
	;; [unrolled: 1-line block ×3, first 2 shown]
	s_waitcnt vmcnt(0) lgkmcnt(0)
	s_barrier
	buffer_gl0_inv
	v_fma_f64 v[30:31], v[4:5], v[20:21], -v[118:119]
	v_mul_f64 v[4:5], v[4:5], v[22:23]
	v_mul_f64 v[22:23], v[0:1], v[34:35]
	v_fma_f64 v[34:35], v[2:3], v[24:25], -v[132:133]
	v_mul_f64 v[2:3], v[2:3], v[26:27]
	v_mul_f64 v[26:27], v[142:143], v[38:39]
	v_fma_f64 v[6:7], v[6:7], v[28:29], -v[124:125]
	v_fma_f64 v[0:1], v[0:1], v[32:33], -v[130:131]
	v_mul_f64 v[38:39], v[56:57], v[38:39]
	v_fma_f64 v[14:15], v[112:113], v[28:29], v[14:15]
	v_fma_f64 v[10:11], v[136:137], v[12:13], v[10:11]
	v_add_f64 v[124:125], v[66:67], -v[64:65]
	v_add_f64 v[132:133], v[16:17], -v[58:59]
	;; [unrolled: 1-line block ×4, first 2 shown]
	v_fma_f64 v[4:5], v[110:111], v[20:21], v[4:5]
	v_fma_f64 v[18:19], v[126:127], v[32:33], v[22:23]
	v_add_f64 v[20:21], v[48:49], -v[70:71]
	v_fma_f64 v[2:3], v[128:129], v[24:25], v[2:3]
	v_fma_f64 v[26:27], v[56:57], v[36:37], -v[26:27]
	v_add_f64 v[22:23], v[46:47], -v[6:7]
	v_add_f64 v[24:25], v[70:71], -v[48:49]
	v_fma_f64 v[12:13], v[142:143], v[36:37], v[38:39]
	v_add_f64 v[28:29], v[6:7], -v[46:47]
	v_add_f64 v[32:33], v[8:9], -v[68:69]
	;; [unrolled: 1-line block ×14, first 2 shown]
	v_add_f64 v[20:21], v[20:21], v[22:23]
	v_add_f64 v[22:23], v[12:13], -v[2:3]
	v_add_f64 v[24:25], v[24:25], v[28:29]
	v_add_f64 v[28:29], v[4:5], -v[10:11]
	;; [unrolled: 2-line block ×3, first 2 shown]
	v_add_f64 v[38:39], v[38:39], v[56:57]
	v_add_f64 v[56:57], v[70:71], v[6:7]
	;; [unrolled: 1-line block ×18, first 2 shown]
	v_add_f64 v[48:49], v[48:49], -v[46:47]
	v_fma_f64 v[56:57], v[56:57], -0.5, v[54:55]
	v_add_f64 v[8:9], v[8:9], -v[44:45]
	v_add_f64 v[116:117], v[116:117], -v[26:27]
	v_fma_f64 v[126:127], v[126:127], -0.5, v[52:53]
	v_add_f64 v[134:135], v[134:135], v[30:31]
	v_add_f64 v[30:31], v[30:31], -v[34:35]
	v_add_f64 v[112:113], v[112:113], v[70:71]
	v_add_f64 v[70:71], v[70:71], -v[6:7]
	v_fma_f64 v[54:55], v[120:121], -0.5, v[54:55]
	v_add_f64 v[120:121], v[130:131], v[68:69]
	v_add_f64 v[130:131], v[64:65], v[14:15]
	v_fma_f64 v[52:53], v[140:141], -0.5, v[52:53]
	v_add_f64 v[140:141], v[66:67], v[42:43]
	v_fma_f64 v[142:143], v[142:143], -0.5, v[50:51]
	v_fma_f64 v[36:37], v[36:37], -0.5, v[50:51]
	v_add_f64 v[50:51], v[58:59], v[18:19]
	v_add_f64 v[68:69], v[68:69], -v[0:1]
	v_add_f64 v[34:35], v[134:135], v[34:35]
	v_add_f64 v[134:135], v[10:11], v[12:13]
	;; [unrolled: 1-line block ×6, first 2 shown]
	v_fma_f64 v[130:131], v[130:131], -0.5, v[138:139]
	v_fma_f64 v[140:141], v[140:141], -0.5, v[138:139]
	v_add_f64 v[138:139], v[138:139], v[66:67]
	v_add_f64 v[66:67], v[66:67], -v[42:43]
	v_fma_f64 v[50:51], v[50:51], -0.5, v[114:115]
	v_add_f64 v[26:27], v[34:35], v[26:27]
	v_fma_f64 v[134:135], v[134:135], -0.5, v[122:123]
	v_add_f64 v[6:7], v[6:7], v[46:47]
	;; [unrolled: 2-line block ×3, first 2 shown]
	v_add_f64 v[16:17], v[16:17], -v[40:41]
	v_fma_f64 v[120:121], v[120:121], -0.5, v[122:123]
	v_add_f64 v[122:123], v[122:123], v[10:11]
	v_add_f64 v[10:11], v[10:11], -v[12:13]
	v_add_f64 v[138:139], v[138:139], v[64:65]
	v_add_f64 v[64:65], v[64:65], -v[14:15]
	v_add_f64 v[0:1], v[0:1], v[44:45]
	v_fma_f64 v[34:35], v[68:69], s[16:17], v[112:113]
	v_add_f64 v[114:115], v[114:115], v[58:59]
	v_add_f64 v[58:59], v[58:59], -v[18:19]
	v_fma_f64 v[112:113], v[68:69], s[18:19], v[112:113]
	v_add_f64 v[122:123], v[122:123], v[4:5]
	v_add_f64 v[4:5], v[4:5], -v[2:3]
	v_add_f64 v[14:15], v[138:139], v[14:15]
	v_sub_nc_u16 v138, v74, v99
	v_mov_b32_e32 v139, 0x168
	v_fma_f64 v[44:45], v[10:11], s[16:17], v[142:143]
	v_lshrrev_b16 v138, 1, v138
	v_mul_u32_u24_sdwa v109, v109, v139 dst_sel:DWORD dst_unused:UNUSED_PAD src0_sel:WORD_0 src1_sel:DWORD
	v_and_b32_e32 v144, 0x7f, v138
	v_fma_f64 v[138:139], v[64:65], s[16:17], v[54:55]
	v_add_f64 v[18:19], v[114:115], v[18:19]
	v_fma_f64 v[114:115], v[64:65], s[18:19], v[54:55]
	v_add_nc_u16 v54, v144, v99
	v_add_f64 v[2:3], v[122:123], v[2:3]
	v_fma_f64 v[122:123], v[66:67], s[16:17], v[56:57]
	v_lshlrev_b32_sdwa v99, v98, v108 dst_sel:DWORD dst_unused:UNUSED_PAD src0_sel:DWORD src1_sel:BYTE_0
	v_fma_f64 v[56:57], v[66:67], s[18:19], v[56:57]
	v_fma_f64 v[46:47], v[58:59], s[18:19], v[52:53]
	;; [unrolled: 1-line block ×3, first 2 shown]
	v_mul_u32_u24_e32 v144, 0x168, v106
	v_add3_u32 v99, 0, v109, v99
	v_mul_u32_u24_sdwa v55, v75, v145 dst_sel:DWORD dst_unused:UNUSED_PAD src0_sel:WORD_0 src1_sel:DWORD
	v_fma_f64 v[44:45], v[4:5], s[14:15], v[44:45]
	v_add_f64 v[42:43], v[14:15], v[42:43]
	v_fma_f64 v[14:15], v[30:31], s[16:17], v[134:135]
	v_fma_f64 v[134:135], v[30:31], s[18:19], v[134:135]
	v_lshrrev_b32_e32 v55, 19, v55
	v_lshrrev_b16 v54, 5, v54
	v_mul_lo_u16 v73, v55, 45
	v_add_f64 v[40:41], v[18:19], v[40:41]
	v_fma_f64 v[108:109], v[66:67], s[14:15], v[114:115]
	v_fma_f64 v[114:115], v[16:17], s[16:17], v[126:127]
	;; [unrolled: 1-line block ×9, first 2 shown]
	v_sub_nc_u16 v57, v75, v73
	v_lshlrev_b32_sdwa v142, v98, v72 dst_sel:DWORD dst_unused:UNUSED_PAD src0_sel:DWORD src1_sel:WORD_0
	v_fma_f64 v[46:47], v[16:17], s[14:15], v[46:47]
	v_fma_f64 v[16:17], v[16:17], s[20:21], v[52:53]
	;; [unrolled: 1-line block ×7, first 2 shown]
	v_mul_lo_u16 v56, v54, 45
	v_add3_u32 v140, 0, v146, v142
	v_lshlrev_b32_sdwa v141, v105, v57 dst_sel:DWORD dst_unused:UNUSED_PAD src0_sel:DWORD src1_sel:WORD_0
	v_add3_u32 v143, 0, v144, v147
	v_fma_f64 v[108:109], v[24:25], s[22:23], v[108:109]
	v_fma_f64 v[114:115], v[58:59], s[14:15], v[114:115]
	;; [unrolled: 1-line block ×21, first 2 shown]
	v_add_f64 v[64:65], v[2:3], v[12:13]
	v_sub_nc_u16 v56, v74, v56
	v_fma_f64 v[38:39], v[32:33], s[22:23], v[114:115]
	v_fma_f64 v[32:33], v[32:33], s[22:23], v[58:59]
	;; [unrolled: 1-line block ×16, first 2 shown]
	v_lshlrev_b32_sdwa v142, v105, v56 dst_sel:DWORD dst_unused:UNUSED_PAD src0_sel:DWORD src1_sel:BYTE_0
	ds_write2_b64 v99, v[6:7], v[66:67] offset1:9
	ds_write2_b64 v99, v[108:109], v[24:25] offset0:18 offset1:27
	ds_write_b64 v99, v[20:21] offset:288
	ds_write2_b64 v143, v[0:1], v[38:39] offset1:9
	ds_write2_b64 v143, v[46:47], v[16:17] offset0:18 offset1:27
	ds_write_b64 v143, v[32:33] offset:288
	;; [unrolled: 3-line block ×3, first 2 shown]
	v_fma_f64 v[72:73], v[124:125], s[22:23], v[72:73]
	v_fma_f64 v[70:71], v[124:125], s[22:23], v[70:71]
	;; [unrolled: 1-line block ×7, first 2 shown]
	s_waitcnt lgkmcnt(0)
	s_barrier
	buffer_gl0_inv
	ds_read_b64 v[22:23], v82
	ds_read_b64 v[137:138], v95
	;; [unrolled: 1-line block ×4, first 2 shown]
	ds_read_b64 v[30:31], v82 offset:15120
	ds_read2_b64 v[16:19], v103 offset0:42 offset1:177
	ds_read2_b64 v[4:7], v102 offset0:56 offset1:191
	;; [unrolled: 1-line block ×5, first 2 shown]
	s_waitcnt lgkmcnt(0)
	s_barrier
	buffer_gl0_inv
	ds_write2_b64 v99, v[42:43], v[72:73] offset1:9
	ds_write2_b64 v99, v[52:53], v[48:49] offset0:18 offset1:27
	ds_write_b64 v99, v[70:71] offset:288
	ds_write2_b64 v143, v[40:41], v[34:35] offset1:9
	ds_write2_b64 v143, v[106:107], v[110:111] offset0:18 offset1:27
	ds_write_b64 v143, v[36:37] offset:288
	;; [unrolled: 3-line block ×3, first 2 shown]
	s_waitcnt lgkmcnt(0)
	s_barrier
	buffer_gl0_inv
	s_clause 0x2
	global_load_dwordx4 v[26:29], v142, s[12:13] offset:688
	global_load_dwordx4 v[34:37], v141, s[12:13] offset:688
	;; [unrolled: 1-line block ×3, first 2 shown]
	v_mul_u32_u24_sdwa v32, v76, v145 dst_sel:DWORD dst_unused:UNUSED_PAD src0_sel:WORD_0 src1_sel:DWORD
	s_clause 0x1
	global_load_dwordx4 v[42:45], v142, s[12:13] offset:704
	global_load_dwordx4 v[64:67], v142, s[12:13] offset:672
	v_lshrrev_b32_e32 v58, 19, v32
	v_mul_lo_u16 v32, v58, 45
	v_sub_nc_u16 v59, v76, v32
	v_lshlrev_b32_sdwa v32, v105, v59 dst_sel:DWORD dst_unused:UNUSED_PAD src0_sel:DWORD src1_sel:WORD_0
	s_clause 0x6
	global_load_dwordx4 v[68:71], v141, s[12:13] offset:720
	global_load_dwordx4 v[105:108], v141, s[12:13] offset:672
	;; [unrolled: 1-line block ×7, first 2 shown]
	ds_read2_b64 v[48:51], v103 offset0:42 offset1:177
	ds_read2_b64 v[129:132], v104 offset0:84 offset1:219
	;; [unrolled: 1-line block ×3, first 2 shown]
	ds_read_b64 v[52:53], v95
	ds_read2_b64 v[101:104], v101 offset0:28 offset1:163
	v_lshlrev_b32_sdwa v59, v98, v59 dst_sel:DWORD dst_unused:UNUSED_PAD src0_sel:DWORD src1_sel:WORD_0
	s_waitcnt vmcnt(11) lgkmcnt(4)
	v_mul_f64 v[32:33], v[48:49], v[28:29]
	v_mul_f64 v[28:29], v[16:17], v[28:29]
	s_waitcnt vmcnt(10)
	v_mul_f64 v[46:47], v[50:51], v[36:37]
	v_mul_f64 v[36:37], v[18:19], v[36:37]
	s_waitcnt vmcnt(9) lgkmcnt(3)
	v_mul_f64 v[72:73], v[129:130], v[40:41]
	v_mul_f64 v[40:41], v[12:13], v[40:41]
	s_waitcnt vmcnt(8) lgkmcnt(2)
	v_mul_f64 v[139:140], v[135:136], v[44:45]
	v_mul_f64 v[141:142], v[6:7], v[44:45]
	s_waitcnt vmcnt(7) lgkmcnt(1)
	v_mul_f64 v[143:144], v[52:53], v[66:67]
	v_fma_f64 v[32:33], v[16:17], v[26:27], -v[32:33]
	v_fma_f64 v[48:49], v[48:49], v[26:27], v[28:29]
	v_fma_f64 v[26:27], v[18:19], v[34:35], -v[46:47]
	v_fma_f64 v[28:29], v[50:51], v[34:35], v[36:37]
	ds_read2_b64 v[44:47], v100 offset0:70 offset1:205
	v_mul_f64 v[34:35], v[137:138], v[66:67]
	s_waitcnt vmcnt(6)
	v_mul_f64 v[36:37], v[131:132], v[70:71]
	s_waitcnt vmcnt(5) lgkmcnt(1)
	v_mul_f64 v[66:67], v[101:102], v[107:108]
	v_fma_f64 v[16:17], v[12:13], v[38:39], -v[72:73]
	v_fma_f64 v[12:13], v[129:130], v[38:39], v[40:41]
	s_waitcnt vmcnt(4)
	v_mul_f64 v[38:39], v[103:104], v[111:112]
	ds_read_b64 v[40:41], v82 offset:15120
	v_fma_f64 v[50:51], v[6:7], v[42:43], -v[139:140]
	v_fma_f64 v[18:19], v[135:136], v[42:43], v[141:142]
	s_waitcnt vmcnt(3)
	v_mul_f64 v[42:43], v[133:134], v[115:116]
	v_fma_f64 v[6:7], v[137:138], v[64:65], -v[143:144]
	s_waitcnt vmcnt(2) lgkmcnt(1)
	v_mul_f64 v[72:73], v[44:45], v[119:120]
	s_waitcnt vmcnt(1)
	v_mul_f64 v[99:100], v[46:47], v[123:124]
	v_fma_f64 v[52:53], v[52:53], v[64:65], v[34:35]
	v_fma_f64 v[137:138], v[14:15], v[68:69], -v[36:37]
	v_mul_f64 v[14:15], v[14:15], v[70:71]
	v_mul_f64 v[34:35], v[8:9], v[107:108]
	v_fma_f64 v[66:67], v[8:9], v[105:106], -v[66:67]
	v_fma_f64 v[70:71], v[10:11], v[109:110], -v[38:39]
	v_mul_f64 v[8:9], v[10:11], v[111:112]
	s_waitcnt vmcnt(0) lgkmcnt(0)
	v_mul_f64 v[10:11], v[40:41], v[127:128]
	v_mul_f64 v[38:39], v[0:1], v[119:120]
	v_fma_f64 v[107:108], v[4:5], v[113:114], -v[42:43]
	v_mul_f64 v[4:5], v[4:5], v[115:116]
	v_add_f64 v[149:150], v[32:33], v[50:51]
	v_add_f64 v[151:152], v[6:7], v[16:17]
	ds_read_b64 v[64:65], v93
	ds_read_b64 v[129:130], v94
	;; [unrolled: 1-line block ×3, first 2 shown]
	s_waitcnt lgkmcnt(0)
	s_barrier
	buffer_gl0_inv
	v_fma_f64 v[72:73], v[0:1], v[117:118], -v[72:73]
	v_fma_f64 v[99:100], v[2:3], v[121:122], -v[99:100]
	v_mul_f64 v[0:1], v[2:3], v[123:124]
	v_mul_f64 v[2:3], v[30:31], v[127:128]
	v_add_f64 v[119:120], v[52:53], -v[48:49]
	v_fma_f64 v[36:37], v[131:132], v[68:69], v[14:15]
	v_fma_f64 v[68:69], v[101:102], v[105:106], v[34:35]
	v_add_f64 v[14:15], v[50:51], -v[16:17]
	v_add_f64 v[123:124], v[48:49], -v[52:53]
	v_fma_f64 v[103:104], v[103:104], v[109:110], v[8:9]
	v_fma_f64 v[111:112], v[30:31], v[125:126], -v[10:11]
	v_fma_f64 v[101:102], v[44:45], v[117:118], v[38:39]
	v_add_f64 v[10:11], v[32:33], -v[6:7]
	v_fma_f64 v[105:106], v[133:134], v[113:114], v[4:5]
	v_add_f64 v[42:43], v[70:71], -v[107:108]
	v_add_f64 v[115:116], v[107:108], -v[70:71]
	;; [unrolled: 1-line block ×5, first 2 shown]
	v_add_f64 v[155:156], v[66:67], v[137:138]
	v_add_f64 v[34:35], v[137:138], -v[72:73]
	v_add_f64 v[153:154], v[26:27], v[72:73]
	v_fma_f64 v[109:110], v[46:47], v[121:122], v[0:1]
	v_fma_f64 v[0:1], v[40:41], v[125:126], v[2:3]
	v_add_f64 v[2:3], v[6:7], -v[32:33]
	v_add_f64 v[40:41], v[72:73], -v[137:138]
	;; [unrolled: 1-line block ×11, first 2 shown]
	v_add_f64 v[44:45], v[10:11], v[14:15]
	v_add_f64 v[145:146], v[105:106], -v[103:104]
	v_add_f64 v[10:11], v[30:31], v[34:35]
	v_add_f64 v[143:144], v[0:1], -v[109:110]
	v_add_f64 v[8:9], v[2:3], v[4:5]
	v_add_f64 v[46:47], v[38:39], v[40:41]
	;; [unrolled: 1-line block ×12, first 2 shown]
	v_fma_f64 v[131:132], v[149:150], -0.5, v[22:23]
	v_fma_f64 v[133:134], v[151:152], -0.5, v[22:23]
	v_add_f64 v[22:23], v[22:23], v[6:7]
	v_add_f64 v[117:118], v[107:108], v[99:100]
	;; [unrolled: 1-line block ×3, first 2 shown]
	v_fma_f64 v[139:140], v[153:154], -0.5, v[24:25]
	v_add_f64 v[125:126], v[105:106], v[109:110]
	v_add_f64 v[127:128], v[103:104], v[0:1]
	v_add_f64 v[147:148], v[109:110], -v[0:1]
	v_add_f64 v[30:31], v[141:142], v[143:144]
	v_fma_f64 v[141:142], v[155:156], -0.5, v[24:25]
	v_add_f64 v[24:25], v[24:25], v[66:67]
	v_add_f64 v[143:144], v[48:49], -v[18:19]
	v_add_f64 v[6:7], v[6:7], -v[16:17]
	v_fma_f64 v[121:122], v[121:122], -0.5, v[64:65]
	v_fma_f64 v[123:124], v[123:124], -0.5, v[64:65]
	v_add_f64 v[64:65], v[64:65], v[68:69]
	v_fma_f64 v[113:114], v[113:114], -0.5, v[135:136]
	v_add_f64 v[68:69], v[68:69], -v[36:37]
	v_fma_f64 v[115:116], v[115:116], -0.5, v[135:136]
	v_add_f64 v[135:136], v[135:136], v[52:53]
	v_add_f64 v[22:23], v[22:23], v[32:33]
	v_fma_f64 v[117:118], v[117:118], -0.5, v[20:21]
	v_fma_f64 v[119:120], v[119:120], -0.5, v[20:21]
	v_add_f64 v[20:21], v[20:21], v[70:71]
	v_fma_f64 v[125:126], v[125:126], -0.5, v[129:130]
	v_fma_f64 v[127:128], v[127:128], -0.5, v[129:130]
	v_add_f64 v[129:130], v[129:130], v[103:104]
	v_add_f64 v[34:35], v[145:146], v[147:148]
	v_add_nc_u32_e32 v145, 0xffffffa6, v74
	v_add_f64 v[24:25], v[24:25], v[26:27]
	v_add_f64 v[26:27], v[26:27], -v[72:73]
	v_add_f64 v[103:104], v[103:104], -v[0:1]
	v_mov_b32_e32 v146, 0x91a3
	v_add_f64 v[70:71], v[70:71], -v[111:112]
	v_add_f64 v[135:136], v[135:136], v[48:49]
	v_add_f64 v[48:49], v[52:53], -v[12:13]
	v_add_f64 v[52:53], v[64:65], v[28:29]
	;; [unrolled: 2-line block ×3, first 2 shown]
	v_add_f64 v[64:65], v[32:33], -v[50:51]
	v_fma_f64 v[50:51], v[143:144], s[18:19], v[133:134]
	v_add_f64 v[20:21], v[20:21], v[107:108]
	v_lshlrev_b32_e32 v32, 1, v74
	v_mov_b32_e32 v33, 0
	v_add_f64 v[129:130], v[129:130], v[105:106]
	v_add_f64 v[105:106], v[105:106], -v[109:110]
	v_add_f64 v[107:108], v[107:108], -v[99:100]
	v_add_f64 v[24:25], v[24:25], v[72:73]
	v_fma_f64 v[72:73], v[143:144], s[16:17], v[133:134]
	v_fma_f64 v[133:134], v[48:49], s[16:17], v[131:132]
	v_add_f64 v[52:53], v[52:53], v[101:102]
	v_lshlrev_b64 v[101:102], 4, v[32:33]
	v_add_nc_u32_e32 v32, 0x5a, v32
	v_fma_f64 v[131:132], v[48:49], s[18:19], v[131:132]
	v_add_f64 v[16:17], v[22:23], v[16:17]
	v_add_f64 v[20:21], v[20:21], v[99:100]
	;; [unrolled: 1-line block ×3, first 2 shown]
	v_lshlrev_b64 v[22:23], 4, v[32:33]
	v_fma_f64 v[135:136], v[28:29], s[18:19], v[141:142]
	v_cndmask_b32_e64 v18, v145, v75, s0
	v_fma_f64 v[50:51], v[48:49], s[14:15], v[50:51]
	v_add_f64 v[109:110], v[129:130], v[109:110]
	v_fma_f64 v[72:73], v[48:49], s[20:21], v[72:73]
	v_add_co_u32 v48, s0, s12, v101
	v_add_co_ci_u32_e64 v49, s0, s13, v102, s0
	v_add_co_u32 v19, s0, s12, v22
	v_add_co_ci_u32_e64 v32, s0, s13, v23, s0
	v_fma_f64 v[101:102], v[143:144], s[14:15], v[133:134]
	v_fma_f64 v[133:134], v[68:69], s[16:17], v[139:140]
	;; [unrolled: 1-line block ×3, first 2 shown]
	v_add_f64 v[22:23], v[66:67], -v[137:138]
	v_fma_f64 v[66:67], v[105:106], s[18:19], v[119:120]
	v_fma_f64 v[119:120], v[105:106], s[16:17], v[119:120]
	v_mov_b32_e32 v130, v33
	v_lshlrev_b32_e32 v129, 1, v18
	v_fma_f64 v[141:142], v[28:29], s[16:17], v[141:142]
	v_fma_f64 v[131:132], v[143:144], s[20:21], v[131:132]
	v_add_f64 v[24:25], v[24:25], v[137:138]
	v_fma_f64 v[137:138], v[103:104], s[16:17], v[117:118]
	v_lshlrev_b64 v[129:130], 4, v[129:130]
	v_fma_f64 v[117:118], v[103:104], s[18:19], v[117:118]
	v_add_f64 v[36:37], v[52:53], v[36:37]
	v_fma_f64 v[52:53], v[70:71], s[18:19], v[125:126]
	v_fma_f64 v[50:51], v[44:45], s[22:23], v[50:51]
	;; [unrolled: 1-line block ×3, first 2 shown]
	v_add_co_u32 v143, s0, s12, v129
	v_add_co_ci_u32_e64 v144, s0, s13, v130, s0
	v_fma_f64 v[129:130], v[68:69], s[14:15], v[135:136]
	v_add_co_u32 v135, s0, 0xde0, v19
	v_add_co_ci_u32_e64 v136, s0, 0, v32, s0
	v_fma_f64 v[133:134], v[28:29], s[14:15], v[133:134]
	v_fma_f64 v[28:29], v[28:29], s[20:21], v[139:140]
	v_add_co_u32 v139, s0, 0x800, v19
	v_add_co_ci_u32_e64 v140, s0, 0, v32, s0
	v_add_f64 v[19:20], v[20:21], v[111:112]
	v_add_co_u32 v111, s0, 0x800, v143
	v_fma_f64 v[66:67], v[103:104], s[14:15], v[66:67]
	v_fma_f64 v[103:104], v[103:104], s[20:21], v[119:120]
	;; [unrolled: 1-line block ×4, first 2 shown]
	v_mul_u32_u24_sdwa v21, v77, v146 dst_sel:DWORD dst_unused:UNUSED_PAD src0_sel:WORD_0 src1_sel:DWORD
	v_mul_u32_u24_sdwa v32, v92, v146 dst_sel:DWORD dst_unused:UNUSED_PAD src0_sel:WORD_0 src1_sel:DWORD
	v_add_co_ci_u32_e64 v112, s0, 0, v144, s0
	v_fma_f64 v[68:69], v[68:69], s[20:21], v[141:142]
	v_add_co_u32 v141, s0, 0xde0, v143
	v_add_co_ci_u32_e64 v142, s0, 0, v144, s0
	v_lshrrev_b32_e32 v143, 23, v21
	v_lshrrev_b32_e32 v21, 23, v32
	v_mul_u32_u24_e32 v32, 0x708, v55
	v_mul_u32_u24_e32 v55, 0x708, v58
	v_lshlrev_b32_sdwa v144, v98, v57 dst_sel:DWORD dst_unused:UNUSED_PAD src0_sel:DWORD src1_sel:WORD_0
	v_add_f64 v[57:58], v[99:100], v[12:13]
	v_fma_f64 v[12:13], v[22:23], s[18:19], v[121:122]
	v_fma_f64 v[99:100], v[22:23], s[16:17], v[121:122]
	;; [unrolled: 1-line block ×12, first 2 shown]
	v_add3_u32 v59, 0, v55, v59
	v_mul_lo_u16 v55, 0xe1, v143
	v_mul_lo_u16 v21, 0xe1, v21
	v_add3_u32 v32, 0, v32, v144
	v_mov_b32_e32 v144, 0x708
	v_fma_f64 v[52:53], v[107:108], s[20:21], v[52:53]
	v_sub_nc_u16 v145, v77, v55
	v_sub_nc_u16 v55, v92, v21
	v_fma_f64 v[72:73], v[8:9], s[22:23], v[101:102]
	v_mul_u32_u24_sdwa v54, v54, v144 dst_sel:DWORD dst_unused:UNUSED_PAD src0_sel:WORD_0 src1_sel:DWORD
	v_fma_f64 v[12:13], v[26:27], s[20:21], v[12:13]
	v_fma_f64 v[26:27], v[26:27], s[14:15], v[99:100]
	v_fma_f64 v[99:100], v[107:108], s[16:17], v[127:128]
	v_fma_f64 v[101:102], v[46:47], s[22:23], v[129:130]
	v_fma_f64 v[117:118], v[64:65], s[20:21], v[117:118]
	v_fma_f64 v[64:65], v[64:65], s[14:15], v[113:114]
	v_add_co_u32 v113, s0, 0x800, v48
	v_fma_f64 v[115:116], v[22:23], s[20:21], v[115:116]
	v_fma_f64 v[21:22], v[22:23], s[14:15], v[121:122]
	v_lshlrev_b32_sdwa v23, v97, v145 dst_sel:DWORD dst_unused:UNUSED_PAD src0_sel:DWORD src1_sel:WORD_0
	v_and_b32_e32 v97, 0xffff, v55
	v_lshlrev_b32_sdwa v55, v98, v56 dst_sel:DWORD dst_unused:UNUSED_PAD src0_sel:DWORD src1_sel:BYTE_0
	v_add_co_ci_u32_e64 v114, s0, 0, v49, s0
	v_add_co_u32 v121, s0, 0xde0, v48
	v_add_co_ci_u32_e64 v122, s0, 0, v49, s0
	v_add_co_u32 v56, s0, s12, v23
	v_add3_u32 v23, 0, v54, v55
	v_fma_f64 v[54:55], v[107:108], s[14:15], v[123:124]
	v_fma_f64 v[46:47], v[46:47], s[22:23], v[68:69]
	;; [unrolled: 1-line block ×15, first 2 shown]
	v_add_f64 v[103:104], v[109:110], v[0:1]
	v_fma_f64 v[109:110], v[40:41], s[22:23], v[115:116]
	v_fma_f64 v[115:116], v[4:5], s[22:23], v[12:13]
	;; [unrolled: 1-line block ×5, first 2 shown]
	ds_write2_b64 v23, v[16:17], v[72:73] offset1:45
	ds_write2_b64 v23, v[50:51], v[44:45] offset0:90 offset1:135
	ds_write_b64 v23, v[8:9] offset:1440
	ds_write2_b64 v32, v[24:25], v[68:69] offset1:45
	ds_write2_b64 v32, v[101:102], v[46:47] offset0:90 offset1:135
	ds_write_b64 v32, v[10:11] offset:1440
	;; [unrolled: 3-line block ×3, first 2 shown]
	v_fma_f64 v[30:31], v[30:31], s[22:23], v[54:55]
	v_fma_f64 v[54:55], v[34:35], s[22:23], v[99:100]
	;; [unrolled: 1-line block ×3, first 2 shown]
	s_waitcnt lgkmcnt(0)
	s_barrier
	buffer_gl0_inv
	ds_read_b64 v[16:17], v82
	ds_read_b64 v[46:47], v93
	;; [unrolled: 1-line block ×5, first 2 shown]
	ds_read2_b64 v[0:3], v83 offset0:35 offset1:170
	ds_read2_b64 v[4:7], v91 offset0:63 offset1:198
	;; [unrolled: 1-line block ×5, first 2 shown]
	s_waitcnt lgkmcnt(0)
	s_barrier
	buffer_gl0_inv
	ds_write2_b64 v23, v[57:58], v[107:108] offset1:45
	ds_write2_b64 v23, v[105:106], v[38:39] offset0:90 offset1:135
	ds_write_b64 v23, v[64:65] offset:1440
	ds_write2_b64 v32, v[36:37], v[115:116] offset1:45
	ds_write2_b64 v32, v[109:110], v[40:41] offset0:90 offset1:135
	ds_write_b64 v32, v[26:27] offset:1440
	;; [unrolled: 3-line block ×3, first 2 shown]
	s_waitcnt lgkmcnt(0)
	s_barrier
	buffer_gl0_inv
	s_clause 0x1
	global_load_dwordx4 v[23:26], v[113:114], off offset:1504
	global_load_dwordx4 v[27:30], v[111:112], off offset:1504
	v_add_co_ci_u32_e64 v127, null, s13, 0, s0
	v_lshlrev_b32_e32 v128, 5, v97
	v_add_co_u32 v31, s0, 0x800, v56
	v_add_co_ci_u32_e64 v32, s0, 0, v127, s0
	v_add_co_u32 v54, s0, s12, v128
	v_add_co_ci_u32_e64 v55, null, s13, 0, s0
	v_add_co_u32 v58, s0, 0xde0, v56
	v_add_co_ci_u32_e64 v59, s0, 0, v127, s0
	v_add_co_u32 v64, s0, 0x800, v54
	v_add_co_ci_u32_e64 v65, s0, 0, v55, s0
	s_clause 0x3
	global_load_dwordx4 v[34:37], v[141:142], off offset:16
	global_load_dwordx4 v[38:41], v[135:136], off offset:16
	;; [unrolled: 1-line block ×4, first 2 shown]
	v_add_co_u32 v31, s0, 0xde0, v54
	v_add_co_ci_u32_e64 v32, s0, 0, v55, s0
	s_clause 0x3
	global_load_dwordx4 v[54:57], v[121:122], off offset:16
	global_load_dwordx4 v[64:67], v[64:65], off offset:1504
	;; [unrolled: 1-line block ×4, first 2 shown]
	ds_read2_b64 v[103:106], v83 offset0:35 offset1:170
	ds_read2_b64 v[107:110], v84 offset0:77 offset1:212
	;; [unrolled: 1-line block ×5, first 2 shown]
	v_cmp_lt_u32_e64 s0, 0x59, v74
	v_lshlrev_b32_e32 v18, 3, v18
	v_lshlrev_b32_sdwa v98, v98, v145 dst_sel:DWORD dst_unused:UNUSED_PAD src0_sel:DWORD src1_sel:WORD_0
	v_lshl_add_u32 v138, v97, 3, 0
	v_lshl_add_u32 v135, v74, 3, 0
	v_cndmask_b32_e64 v136, 0, 0x1518, s0
	v_add_nc_u32_e32 v137, 0x1600, v135
	v_add3_u32 v136, 0, v136, v18
	v_mul_u32_u24_e32 v18, 0x1518, v143
	s_waitcnt vmcnt(9) lgkmcnt(4)
	v_mul_f64 v[31:32], v[103:104], v[25:26]
	v_mul_f64 v[25:26], v[0:1], v[25:26]
	s_waitcnt vmcnt(8)
	v_mul_f64 v[58:59], v[105:106], v[29:30]
	v_mul_f64 v[29:30], v[2:3], v[29:30]
	s_waitcnt vmcnt(7) lgkmcnt(3)
	v_mul_f64 v[127:128], v[107:108], v[36:37]
	s_waitcnt vmcnt(6)
	v_mul_f64 v[129:130], v[109:110], v[40:41]
	s_waitcnt vmcnt(5) lgkmcnt(2)
	v_mul_f64 v[131:132], v[111:112], v[44:45]
	s_waitcnt vmcnt(4)
	v_mul_f64 v[133:134], v[113:114], v[52:53]
	v_fma_f64 v[0:1], v[0:1], v[23:24], -v[31:32]
	v_fma_f64 v[23:24], v[103:104], v[23:24], v[25:26]
	s_waitcnt vmcnt(3) lgkmcnt(1)
	v_mul_f64 v[25:26], v[117:118], v[56:57]
	v_fma_f64 v[2:3], v[2:3], v[27:28], -v[58:59]
	s_waitcnt vmcnt(1) lgkmcnt(0)
	v_mul_f64 v[58:59], v[119:120], v[70:71]
	v_mul_f64 v[31:32], v[115:116], v[66:67]
	s_waitcnt vmcnt(0)
	v_mul_f64 v[103:104], v[121:122], v[101:102]
	v_fma_f64 v[27:28], v[105:106], v[27:28], v[29:30]
	v_mul_f64 v[29:30], v[6:7], v[56:57]
	v_mul_f64 v[36:37], v[8:9], v[36:37]
	;; [unrolled: 1-line block ×8, first 2 shown]
	v_fma_f64 v[8:9], v[8:9], v[34:35], -v[127:128]
	v_fma_f64 v[10:11], v[10:11], v[38:39], -v[129:130]
	;; [unrolled: 1-line block ×4, first 2 shown]
	v_add3_u32 v127, 0, v18, v98
	v_add_nc_u32_e32 v128, 0x2a00, v138
	v_fma_f64 v[6:7], v[6:7], v[54:55], -v[25:26]
	v_fma_f64 v[18:19], v[19:20], v[68:69], -v[58:59]
	v_fma_f64 v[4:5], v[4:5], v[64:65], -v[31:32]
	v_fma_f64 v[20:21], v[21:22], v[99:100], -v[103:104]
	ds_read_b64 v[25:26], v82
	ds_read_b64 v[31:32], v93
	;; [unrolled: 1-line block ×4, first 2 shown]
	v_fma_f64 v[29:30], v[117:118], v[54:55], v[29:30]
	v_fma_f64 v[34:35], v[107:108], v[34:35], v[36:37]
	;; [unrolled: 1-line block ×8, first 2 shown]
	v_add_f64 v[56:57], v[16:17], v[0:1]
	v_add_f64 v[66:67], v[46:47], v[2:3]
	;; [unrolled: 1-line block ×3, first 2 shown]
	ds_read_b64 v[54:55], v96
	v_add_f64 v[68:69], v[12:13], v[10:11]
	v_add_f64 v[70:71], v[72:73], v[12:13]
	;; [unrolled: 1-line block ×3, first 2 shown]
	v_add_f64 v[2:3], v[2:3], -v[8:9]
	v_add_f64 v[52:53], v[0:1], v[6:7]
	s_waitcnt lgkmcnt(4)
	v_add_f64 v[109:110], v[25:26], v[23:24]
	v_add_f64 v[99:100], v[14:15], v[18:19]
	s_waitcnt lgkmcnt(3)
	v_add_f64 v[113:114], v[31:32], v[27:28]
	v_add_f64 v[103:104], v[4:5], v[20:21]
	;; [unrolled: 1-line block ×5, first 2 shown]
	v_add_f64 v[22:23], v[23:24], -v[29:30]
	v_add_f64 v[115:116], v[38:39], v[36:37]
	v_add_f64 v[27:28], v[27:28], -v[34:35]
	s_waitcnt lgkmcnt(2)
	v_add_f64 v[121:122], v[58:59], v[38:39]
	v_add_f64 v[117:118], v[40:41], v[44:45]
	;; [unrolled: 1-line block ×3, first 2 shown]
	v_add_f64 v[38:39], v[38:39], -v[36:37]
	v_add_f64 v[0:1], v[0:1], -v[6:7]
	v_fma_f64 v[46:47], v[64:65], -0.5, v[46:47]
	v_add_f64 v[12:13], v[12:13], -v[10:11]
	v_fma_f64 v[64:65], v[68:69], -0.5, v[72:73]
	v_add_f64 v[68:69], v[42:43], -v[50:51]
	v_add_f64 v[14:15], v[14:15], -v[18:19]
	;; [unrolled: 1-line block ×3, first 2 shown]
	v_fma_f64 v[16:17], v[52:53], -0.5, v[16:17]
	v_add_f64 v[52:53], v[40:41], -v[44:45]
	v_fma_f64 v[72:73], v[99:100], -0.5, v[123:124]
	s_waitcnt lgkmcnt(1)
	v_add_f64 v[40:41], v[97:98], v[40:41]
	v_fma_f64 v[99:100], v[103:104], -0.5, v[125:126]
	s_waitcnt lgkmcnt(0)
	v_add_f64 v[42:43], v[54:55], v[42:43]
	v_add_f64 v[6:7], v[56:57], v[6:7]
	;; [unrolled: 1-line block ×3, first 2 shown]
	v_fma_f64 v[24:25], v[107:108], -0.5, v[25:26]
	v_fma_f64 v[31:32], v[111:112], -0.5, v[31:32]
	;; [unrolled: 1-line block ×3, first 2 shown]
	v_add_f64 v[10:11], v[70:71], v[10:11]
	v_fma_f64 v[58:59], v[117:118], -0.5, v[97:98]
	v_fma_f64 v[54:55], v[119:120], -0.5, v[54:55]
	v_add_f64 v[18:19], v[101:102], v[18:19]
	v_add_f64 v[20:21], v[105:106], v[20:21]
	s_barrier
	buffer_gl0_inv
	v_add_f64 v[29:30], v[109:110], v[29:30]
	v_add_f64 v[34:35], v[113:114], v[34:35]
	v_add_f64 v[36:37], v[121:122], v[36:37]
	v_fma_f64 v[66:67], v[22:23], s[4:5], v[16:17]
	v_fma_f64 v[16:17], v[22:23], s[6:7], v[16:17]
	v_fma_f64 v[22:23], v[27:28], s[4:5], v[46:47]
	v_fma_f64 v[26:27], v[27:28], s[6:7], v[46:47]
	v_fma_f64 v[46:47], v[38:39], s[4:5], v[64:65]
	v_fma_f64 v[38:39], v[38:39], s[6:7], v[64:65]
	v_fma_f64 v[64:65], v[52:53], s[4:5], v[72:73]
	v_fma_f64 v[52:53], v[52:53], s[6:7], v[72:73]
	v_fma_f64 v[70:71], v[68:69], s[4:5], v[99:100]
	v_fma_f64 v[68:69], v[68:69], s[6:7], v[99:100]
	v_add_f64 v[40:41], v[40:41], v[44:45]
	v_add_f64 v[42:43], v[42:43], v[50:51]
	v_fma_f64 v[44:45], v[0:1], s[6:7], v[24:25]
	v_fma_f64 v[24:25], v[0:1], s[4:5], v[24:25]
	;; [unrolled: 1-line block ×10, first 2 shown]
	ds_write2_b64 v82, v[6:7], v[66:67] offset1:225
	ds_write_b64 v82, v[16:17] offset:3600
	ds_write2_b64 v136, v[8:9], v[22:23] offset1:225
	ds_write_b64 v136, v[26:27] offset:3600
	ds_write2_b64 v137, v[10:11], v[46:47] offset0:16 offset1:241
	ds_write_b64 v135, v[38:39] offset:9360
	ds_write2_b64 v127, v[18:19], v[64:65] offset1:225
	ds_write_b64 v127, v[52:53] offset:3600
	ds_write2_b64 v128, v[20:21], v[70:71] offset0:6 offset1:231
	ds_write_b64 v138, v[68:69] offset:14400
	s_waitcnt lgkmcnt(0)
	s_barrier
	buffer_gl0_inv
	ds_read_b64 v[66:67], v94
	ds_read_b64 v[64:65], v95
	;; [unrolled: 1-line block ×5, first 2 shown]
	ds_read2_b64 v[0:3], v83 offset0:35 offset1:170
	ds_read2_b64 v[16:19], v91 offset0:63 offset1:198
	;; [unrolled: 1-line block ×5, first 2 shown]
	s_waitcnt lgkmcnt(0)
	s_barrier
	buffer_gl0_inv
	ds_write2_b64 v82, v[29:30], v[44:45] offset1:225
	ds_write_b64 v82, v[24:25] offset:3600
	ds_write2_b64 v136, v[34:35], v[50:51] offset1:225
	ds_write_b64 v136, v[31:32] offset:3600
	ds_write2_b64 v137, v[36:37], v[97:98] offset0:16 offset1:241
	ds_write_b64 v135, v[56:57] offset:9360
	ds_write2_b64 v127, v[40:41], v[99:100] offset1:225
	ds_write_b64 v127, v[58:59] offset:3600
	ds_write2_b64 v128, v[42:43], v[101:102] offset0:6 offset1:231
	ds_write_b64 v138, v[54:55] offset:14400
	s_waitcnt lgkmcnt(0)
	s_barrier
	buffer_gl0_inv
	s_and_saveexec_b32 s0, vcc_lo
	s_cbranch_execz .LBB0_15
; %bb.14:
	v_lshlrev_b32_e32 v32, 1, v92
	v_add_co_u32 v22, vcc_lo, 0x2a00, v48
	v_add_co_ci_u32_e32 v23, vcc_lo, 0, v49, vcc_lo
	v_lshlrev_b64 v[20:21], 4, v[32:33]
	v_lshlrev_b32_e32 v32, 1, v77
	v_mul_hi_u32 v106, 0xc22e4507, v74
	v_add_nc_u32_e32 v107, 0x87, v74
	v_add_nc_u32_e32 v108, 0x10e, v74
	v_mul_lo_u32 v77, s9, v62
	v_add_co_u32 v24, vcc_lo, s12, v20
	v_add_co_ci_u32_e32 v25, vcc_lo, s13, v21, vcc_lo
	v_lshlrev_b64 v[36:37], 4, v[32:33]
	v_add_co_u32 v20, vcc_lo, 0x2800, v24
	v_add_co_ci_u32_e32 v21, vcc_lo, 0, v25, vcc_lo
	v_add_co_u32 v34, vcc_lo, 0x2a00, v24
	v_lshlrev_b32_e32 v32, 1, v76
	v_add_co_ci_u32_e32 v35, vcc_lo, 0, v25, vcc_lo
	v_add_co_u32 v38, vcc_lo, s12, v36
	s_clause 0x2
	global_load_dwordx4 v[28:31], v[22:23], off offset:16
	global_load_dwordx4 v[24:27], v[20:21], off offset:512
	;; [unrolled: 1-line block ×3, first 2 shown]
	v_add_co_ci_u32_e32 v39, vcc_lo, s13, v37, vcc_lo
	v_lshlrev_b64 v[34:35], 4, v[32:33]
	v_add_co_u32 v36, vcc_lo, 0x2a00, v38
	v_add_co_ci_u32_e32 v37, vcc_lo, 0, v39, vcc_lo
	v_lshlrev_b32_e32 v32, 1, v75
	v_add_co_u32 v50, vcc_lo, s12, v34
	v_add_co_ci_u32_e32 v51, vcc_lo, s13, v35, vcc_lo
	v_add_co_u32 v34, vcc_lo, 0x2800, v38
	v_add_co_ci_u32_e32 v35, vcc_lo, 0, v39, vcc_lo
	;; [unrolled: 2-line block ×4, first 2 shown]
	v_lshlrev_b64 v[48:49], 4, v[32:33]
	s_clause 0x3
	global_load_dwordx4 v[40:43], v[36:37], off offset:16
	global_load_dwordx4 v[36:39], v[34:35], off offset:512
	;; [unrolled: 1-line block ×4, first 2 shown]
	v_mul_lo_u32 v105, s8, v63
	v_mad_u64_u32 v[75:76], null, s8, v62, 0
	v_add_nc_u32_e32 v109, 0x195, v74
	v_add_co_u32 v46, vcc_lo, s12, v48
	v_add_co_ci_u32_e32 v47, vcc_lo, s13, v49, vcc_lo
	v_add_co_u32 v44, vcc_lo, 0x2a00, v50
	v_add_co_ci_u32_e32 v45, vcc_lo, 0, v51, vcc_lo
	v_add_co_u32 v48, vcc_lo, 0x2800, v46
	v_add_co_ci_u32_e32 v49, vcc_lo, 0, v47, vcc_lo
	v_add_co_u32 v52, vcc_lo, 0x2a00, v46
	v_add_co_ci_u32_e32 v53, vcc_lo, 0, v47, vcc_lo
	s_clause 0x2
	global_load_dwordx4 v[44:47], v[44:45], off offset:16
	global_load_dwordx4 v[48:51], v[48:49], off offset:512
	global_load_dwordx4 v[52:55], v[52:53], off offset:16
	v_sub_nc_u32_e32 v88, 0, v88
	v_sub_nc_u32_e32 v89, 0, v89
	v_add_nc_u32_e32 v110, 0x21c, v74
	v_mul_hi_u32 v112, 0xc22e4507, v107
	v_mul_hi_u32 v113, 0xc22e4507, v108
	ds_read2_b64 v[95:98], v90 offset0:91 offset1:226
	v_sub_nc_u32_e32 v90, 0, v86
	v_sub_nc_u32_e32 v111, 0, v87
	v_mul_hi_u32 v114, 0xc22e4507, v109
	v_add_nc_u32_e32 v81, v81, v89
	v_add_nc_u32_e32 v80, v80, v88
	v_lshrrev_b32_e32 v88, 9, v106
	v_mul_hi_u32 v115, 0xc22e4507, v110
	v_add3_u32 v76, v76, v105, v77
	ds_read2_b64 v[91:94], v91 offset0:63 offset1:198
	v_lshlrev_b64 v[103:104], 4, v[60:61]
	ds_read2_b64 v[60:63], v85 offset0:49 offset1:184
	ds_read2_b64 v[84:87], v84 offset0:77 offset1:212
	;; [unrolled: 1-line block ×3, first 2 shown]
	ds_read_b64 v[82:83], v82
	v_add_nc_u32_e32 v141, v79, v111
	v_add_nc_u32_e32 v144, v78, v90
	ds_read_b64 v[77:78], v81
	ds_read_b64 v[79:80], v80
	v_mul_u32_u24_e32 v81, 0x2a3, v88
	v_lshrrev_b32_e32 v90, 9, v112
	v_lshrrev_b32_e32 v105, 9, v113
	v_lshlrev_b64 v[75:76], 4, v[75:76]
	v_lshrrev_b32_e32 v106, 9, v114
	v_lshrrev_b32_e32 v111, 9, v115
	v_sub_nc_u32_e32 v81, v74, v81
	v_mul_u32_u24_e32 v88, 0x2a3, v90
	v_mul_u32_u24_e32 v89, 0x2a3, v105
	v_mul_u32_u24_e32 v112, 0x2a3, v106
	v_mul_u32_u24_e32 v113, 0x2a3, v111
	v_add_co_u32 v114, vcc_lo, s10, v75
	v_add_nc_u32_e32 v129, 0x2a3, v81
	v_sub_nc_u32_e32 v107, v107, v88
	v_add_co_ci_u32_e32 v76, vcc_lo, s11, v76, vcc_lo
	v_add_nc_u32_e32 v130, 0x546, v81
	v_sub_nc_u32_e32 v108, v108, v89
	v_sub_nc_u32_e32 v109, v109, v112
	v_mad_u64_u32 v[74:75], null, s2, v81, 0
	v_sub_nc_u32_e32 v110, v110, v113
	v_add_co_u32 v147, vcc_lo, v114, v103
	v_mad_u64_u32 v[88:89], null, s2, v129, 0
	v_mad_u32_u24 v131, 0x7e9, v90, v107
	v_add_co_ci_u32_e32 v148, vcc_lo, v76, v104, vcc_lo
	v_mad_u64_u32 v[103:104], null, s2, v130, 0
	v_mad_u32_u24 v132, 0x7e9, v105, v108
	v_mad_u32_u24 v133, 0x7e9, v106, v109
	;; [unrolled: 1-line block ×3, first 2 shown]
	v_mad_u64_u32 v[105:106], null, s2, v131, 0
	v_add_nc_u32_e32 v135, 0x2a3, v131
	v_add_nc_u32_e32 v136, 0x546, v131
	v_mad_u64_u32 v[107:108], null, s2, v132, 0
	v_mad_u64_u32 v[75:76], null, s3, v81, v[75:76]
	v_add_nc_u32_e32 v137, 0x2a3, v132
	v_mad_u64_u32 v[109:110], null, s2, v133, 0
	v_mov_b32_e32 v76, v89
	v_add_nc_u32_e32 v138, 0x546, v132
	v_mad_u64_u32 v[111:112], null, s2, v134, 0
	v_mov_b32_e32 v81, v104
	v_add_nc_u32_e32 v139, 0x2a3, v133
	v_mad_u64_u32 v[113:114], null, s2, v135, 0
	v_add_nc_u32_e32 v140, 0x546, v133
	v_add_nc_u32_e32 v142, 0x2a3, v134
	v_mad_u64_u32 v[115:116], null, s2, v136, 0
	v_mad_u64_u32 v[117:118], null, s2, v137, 0
	s_waitcnt lgkmcnt(1)
	v_mad_u64_u32 v[89:90], null, s3, v129, v[76:77]
	v_mov_b32_e32 v76, v106
	v_mad_u64_u32 v[119:120], null, s2, v138, 0
	v_mad_u64_u32 v[129:130], null, s3, v130, v[81:82]
	v_mov_b32_e32 v81, v108
	v_mad_u64_u32 v[121:122], null, s2, v139, 0
	v_add_nc_u32_e32 v143, 0x546, v134
	v_mad_u64_u32 v[123:124], null, s2, v140, 0
	v_mad_u64_u32 v[125:126], null, s2, v142, 0
	v_mov_b32_e32 v90, v110
	v_mov_b32_e32 v104, v112
	v_mad_u64_u32 v[130:131], null, s3, v131, v[76:77]
	v_mov_b32_e32 v76, v114
	v_mad_u64_u32 v[131:132], null, s3, v132, v[81:82]
	;; [unrolled: 2-line block ×3, first 2 shown]
	v_mad_u64_u32 v[132:133], null, s3, v133, v[90:91]
	v_mov_b32_e32 v90, v118
	v_mad_u64_u32 v[133:134], null, s3, v134, v[104:105]
	v_mov_b32_e32 v106, v120
	v_mov_b32_e32 v108, v122
	v_mad_u64_u32 v[134:135], null, s3, v135, v[76:77]
	v_mad_u64_u32 v[135:136], null, s3, v136, v[81:82]
	v_mov_b32_e32 v76, v124
	v_mov_b32_e32 v81, v126
	v_mad_u64_u32 v[136:137], null, s3, v137, v[90:91]
	v_mad_u64_u32 v[137:138], null, s3, v138, v[106:107]
	;; [unrolled: 1-line block ×3, first 2 shown]
	v_mov_b32_e32 v104, v129
	v_mad_u64_u32 v[139:140], null, s3, v140, v[76:77]
	v_mov_b32_e32 v76, v128
	v_mad_u64_u32 v[128:129], null, s3, v142, v[81:82]
	v_mov_b32_e32 v106, v130
	v_mov_b32_e32 v108, v131
	;; [unrolled: 1-line block ×9, first 2 shown]
	v_lshlrev_b64 v[74:75], 4, v[74:75]
	v_lshlrev_b64 v[88:89], 4, v[88:89]
	;; [unrolled: 1-line block ×6, first 2 shown]
	v_add_co_u32 v74, vcc_lo, v147, v74
	v_add_co_ci_u32_e32 v75, vcc_lo, v148, v75, vcc_lo
	v_add_co_u32 v88, vcc_lo, v147, v88
	v_add_co_ci_u32_e32 v89, vcc_lo, v148, v89, vcc_lo
	;; [unrolled: 2-line block ×4, first 2 shown]
	v_lshlrev_b64 v[111:112], 4, v[111:112]
	v_add_co_u32 v107, vcc_lo, v147, v107
	v_add_co_ci_u32_e32 v108, vcc_lo, v148, v108, vcc_lo
	v_lshlrev_b64 v[113:114], 4, v[113:114]
	v_add_co_u32 v109, vcc_lo, v147, v109
	v_mad_u64_u32 v[142:143], null, s3, v143, v[76:77]
	ds_read_b64 v[140:141], v141
	ds_read_b64 v[143:144], v144
	v_add_co_ci_u32_e32 v110, vcc_lo, v148, v110, vcc_lo
	v_lshlrev_b64 v[115:116], 4, v[115:116]
	v_add_co_u32 v111, vcc_lo, v147, v111
	v_add_co_ci_u32_e32 v112, vcc_lo, v148, v112, vcc_lo
	v_lshlrev_b64 v[117:118], 4, v[117:118]
	v_add_co_u32 v113, vcc_lo, v147, v113
	;; [unrolled: 3-line block ×3, first 2 shown]
	v_mov_b32_e32 v124, v139
	v_add_co_ci_u32_e32 v116, vcc_lo, v148, v116, vcc_lo
	v_lshlrev_b64 v[121:122], 4, v[121:122]
	v_add_co_u32 v117, vcc_lo, v147, v117
	v_add_co_ci_u32_e32 v118, vcc_lo, v148, v118, vcc_lo
	v_lshlrev_b64 v[123:124], 4, v[123:124]
	v_add_co_u32 v119, vcc_lo, v147, v119
	v_mov_b32_e32 v126, v128
	v_mov_b32_e32 v128, v142
	v_add_co_ci_u32_e32 v120, vcc_lo, v148, v120, vcc_lo
	s_waitcnt vmcnt(9)
	v_mul_f64 v[129:130], v[93:94], v[30:31]
	v_mul_f64 v[30:31], v[18:19], v[30:31]
	s_waitcnt vmcnt(8)
	v_mul_f64 v[131:132], v[91:92], v[26:27]
	v_mul_f64 v[26:27], v[16:17], v[26:27]
	;; [unrolled: 3-line block ×3, first 2 shown]
	v_fma_f64 v[18:19], v[18:19], v[28:29], -v[129:130]
	v_fma_f64 v[28:29], v[28:29], v[93:94], v[30:31]
	v_fma_f64 v[16:17], v[16:17], v[24:25], -v[131:132]
	s_waitcnt vmcnt(6)
	v_mul_f64 v[137:138], v[95:96], v[42:43]
	v_mul_f64 v[42:43], v[12:13], v[42:43]
	s_waitcnt vmcnt(5)
	v_mul_f64 v[145:146], v[62:63], v[38:39]
	s_waitcnt vmcnt(3)
	v_mul_f64 v[133:134], v[99:100], v[58:59]
	v_mul_f64 v[58:59], v[0:1], v[58:59]
	;; [unrolled: 1-line block ×5, first 2 shown]
	v_fma_f64 v[24:25], v[24:25], v[91:92], v[26:27]
	v_fma_f64 v[14:15], v[14:15], v[20:21], -v[135:136]
	v_fma_f64 v[20:21], v[20:21], v[97:98], v[22:23]
	v_lshlrev_b64 v[90:91], 4, v[125:126]
	v_lshlrev_b64 v[125:126], 4, v[127:128]
	v_fma_f64 v[12:13], v[12:13], v[40:41], -v[137:138]
	s_waitcnt vmcnt(2)
	v_mul_f64 v[93:94], v[6:7], v[46:47]
	s_waitcnt vmcnt(1)
	v_mul_f64 v[129:130], v[2:3], v[50:51]
	s_waitcnt vmcnt(0)
	v_mul_f64 v[26:27], v[4:5], v[54:55]
	v_mul_f64 v[50:51], v[101:102], v[50:51]
	v_mul_f64 v[54:55], v[84:85], v[54:55]
	;; [unrolled: 1-line block ×3, first 2 shown]
	v_fma_f64 v[0:1], v[0:1], v[56:57], -v[133:134]
	v_fma_f64 v[56:57], v[56:57], v[99:100], v[58:59]
	v_fma_f64 v[22:23], v[40:41], v[95:96], v[42:43]
	v_fma_f64 v[10:11], v[10:11], v[36:37], -v[145:146]
	v_fma_f64 v[36:37], v[36:37], v[62:63], v[38:39]
	v_fma_f64 v[8:9], v[8:9], v[32:33], -v[30:31]
	v_fma_f64 v[30:31], v[32:33], v[60:61], v[34:35]
	v_add_f64 v[62:63], v[24:25], -v[20:21]
	v_add_co_u32 v99, vcc_lo, v147, v121
	v_add_co_ci_u32_e32 v100, vcc_lo, v148, v122, vcc_lo
	v_add_co_u32 v60, vcc_lo, v147, v123
	v_add_co_ci_u32_e32 v61, vcc_lo, v148, v124, vcc_lo
	v_fma_f64 v[32:33], v[44:45], v[86:87], v[93:94]
	v_fma_f64 v[34:35], v[48:49], v[101:102], v[129:130]
	v_fma_f64 v[26:27], v[52:53], v[84:85], v[26:27]
	v_fma_f64 v[38:39], v[2:3], v[48:49], -v[50:51]
	v_fma_f64 v[40:41], v[4:5], v[52:53], -v[54:55]
	;; [unrolled: 1-line block ×3, first 2 shown]
	v_add_f64 v[6:7], v[0:1], v[18:19]
	v_add_f64 v[2:3], v[56:57], v[28:29]
	v_add_f64 v[4:5], v[56:57], v[82:83]
	v_add_f64 v[44:45], v[72:73], v[0:1]
	v_add_f64 v[52:53], v[24:25], v[20:21]
	v_add_f64 v[48:49], v[56:57], -v[28:29]
	v_add_f64 v[56:57], v[16:17], v[14:15]
	v_add_f64 v[54:55], v[24:25], v[77:78]
	;; [unrolled: 1-line block ×4, first 2 shown]
	v_add_f64 v[46:47], v[0:1], -v[18:19]
	v_add_f64 v[50:51], v[16:17], -v[14:15]
	v_add_f64 v[16:17], v[68:69], v[16:17]
	v_add_f64 v[121:122], v[64:65], v[10:11]
	s_waitcnt lgkmcnt(2)
	v_add_f64 v[94:95], v[36:37], v[79:80]
	v_add_f64 v[86:87], v[10:11], -v[12:13]
	v_add_f64 v[58:59], v[30:31], v[32:33]
	s_waitcnt lgkmcnt(0)
	v_add_f64 v[127:128], v[34:35], v[143:144]
	v_add_f64 v[84:85], v[34:35], v[26:27]
	;; [unrolled: 1-line block ×5, first 2 shown]
	v_add_f64 v[123:124], v[30:31], -v[32:33]
	v_fma_f64 v[81:82], v[2:3], -0.5, v[82:83]
	v_add_f64 v[2:3], v[28:29], v[4:5]
	v_fma_f64 v[28:29], v[6:7], -0.5, v[72:73]
	v_add_f64 v[0:1], v[44:45], v[18:19]
	v_add_f64 v[44:45], v[30:31], v[140:141]
	;; [unrolled: 1-line block ×3, first 2 shown]
	v_fma_f64 v[52:53], v[52:53], -0.5, v[77:78]
	v_add_f64 v[76:77], v[38:39], -v[40:41]
	v_add_f64 v[131:132], v[34:35], -v[26:27]
	;; [unrolled: 1-line block ×3, first 2 shown]
	v_fma_f64 v[68:69], v[56:57], -0.5, v[68:69]
	v_add_f64 v[36:37], v[36:37], -v[22:23]
	v_fma_f64 v[78:79], v[24:25], -0.5, v[79:80]
	v_fma_f64 v[64:65], v[96:97], -0.5, v[64:65]
	v_add_f64 v[4:5], v[16:17], v[14:15]
	v_fma_f64 v[58:59], v[58:59], -0.5, v[140:141]
	v_add_f64 v[8:9], v[121:122], v[12:13]
	;; [unrolled: 2-line block ×3, first 2 shown]
	v_fma_f64 v[70:71], v[92:93], -0.5, v[70:71]
	v_fma_f64 v[56:57], v[101:102], -0.5, v[66:67]
	v_add_f64 v[24:25], v[129:130], v[40:41]
	v_fma_f64 v[18:19], v[46:47], s[6:7], v[81:82]
	v_fma_f64 v[14:15], v[46:47], s[4:5], v[81:82]
	;; [unrolled: 1-line block ×4, first 2 shown]
	v_add_f64 v[6:7], v[20:21], v[54:55]
	v_add_f64 v[20:21], v[30:31], v[42:43]
	v_fma_f64 v[30:31], v[50:51], s[4:5], v[52:53]
	v_fma_f64 v[34:35], v[50:51], s[6:7], v[52:53]
	v_add_f64 v[10:11], v[22:23], v[94:95]
	v_add_f64 v[22:23], v[32:33], v[44:45]
	v_fma_f64 v[32:33], v[62:63], s[4:5], v[68:69]
	v_fma_f64 v[28:29], v[62:63], s[6:7], v[68:69]
	;; [unrolled: 1-line block ×3, first 2 shown]
	v_add_co_u32 v62, vcc_lo, v147, v90
	v_fma_f64 v[54:55], v[72:73], s[6:7], v[58:59]
	v_fma_f64 v[42:43], v[72:73], s[4:5], v[58:59]
	;; [unrolled: 1-line block ×11, first 2 shown]
	v_add_co_ci_u32_e32 v63, vcc_lo, v148, v91, vcc_lo
	v_add_co_u32 v64, vcc_lo, v147, v125
	v_add_co_ci_u32_e32 v65, vcc_lo, v148, v126, vcc_lo
	global_store_dwordx4 v[74:75], v[0:3], off
	global_store_dwordx4 v[88:89], v[16:19], off
	;; [unrolled: 1-line block ×15, first 2 shown]
.LBB0_15:
	s_endpgm
	.section	.rodata,"a",@progbits
	.p2align	6, 0x0
	.amdhsa_kernel fft_rtc_fwd_len2025_factors_3_3_5_5_3_3_wgs_135_tpt_135_halfLds_dp_op_CI_CI_sbrr_dirReg
		.amdhsa_group_segment_fixed_size 0
		.amdhsa_private_segment_fixed_size 0
		.amdhsa_kernarg_size 104
		.amdhsa_user_sgpr_count 6
		.amdhsa_user_sgpr_private_segment_buffer 1
		.amdhsa_user_sgpr_dispatch_ptr 0
		.amdhsa_user_sgpr_queue_ptr 0
		.amdhsa_user_sgpr_kernarg_segment_ptr 1
		.amdhsa_user_sgpr_dispatch_id 0
		.amdhsa_user_sgpr_flat_scratch_init 0
		.amdhsa_user_sgpr_private_segment_size 0
		.amdhsa_wavefront_size32 1
		.amdhsa_uses_dynamic_stack 0
		.amdhsa_system_sgpr_private_segment_wavefront_offset 0
		.amdhsa_system_sgpr_workgroup_id_x 1
		.amdhsa_system_sgpr_workgroup_id_y 0
		.amdhsa_system_sgpr_workgroup_id_z 0
		.amdhsa_system_sgpr_workgroup_info 0
		.amdhsa_system_vgpr_workitem_id 0
		.amdhsa_next_free_vgpr 157
		.amdhsa_next_free_sgpr 31
		.amdhsa_reserve_vcc 1
		.amdhsa_reserve_flat_scratch 0
		.amdhsa_float_round_mode_32 0
		.amdhsa_float_round_mode_16_64 0
		.amdhsa_float_denorm_mode_32 3
		.amdhsa_float_denorm_mode_16_64 3
		.amdhsa_dx10_clamp 1
		.amdhsa_ieee_mode 1
		.amdhsa_fp16_overflow 0
		.amdhsa_workgroup_processor_mode 1
		.amdhsa_memory_ordered 1
		.amdhsa_forward_progress 0
		.amdhsa_shared_vgpr_count 0
		.amdhsa_exception_fp_ieee_invalid_op 0
		.amdhsa_exception_fp_denorm_src 0
		.amdhsa_exception_fp_ieee_div_zero 0
		.amdhsa_exception_fp_ieee_overflow 0
		.amdhsa_exception_fp_ieee_underflow 0
		.amdhsa_exception_fp_ieee_inexact 0
		.amdhsa_exception_int_div_zero 0
	.end_amdhsa_kernel
	.text
.Lfunc_end0:
	.size	fft_rtc_fwd_len2025_factors_3_3_5_5_3_3_wgs_135_tpt_135_halfLds_dp_op_CI_CI_sbrr_dirReg, .Lfunc_end0-fft_rtc_fwd_len2025_factors_3_3_5_5_3_3_wgs_135_tpt_135_halfLds_dp_op_CI_CI_sbrr_dirReg
                                        ; -- End function
	.section	.AMDGPU.csdata,"",@progbits
; Kernel info:
; codeLenInByte = 14616
; NumSgprs: 33
; NumVgprs: 157
; ScratchSize: 0
; MemoryBound: 1
; FloatMode: 240
; IeeeMode: 1
; LDSByteSize: 0 bytes/workgroup (compile time only)
; SGPRBlocks: 4
; VGPRBlocks: 19
; NumSGPRsForWavesPerEU: 33
; NumVGPRsForWavesPerEU: 157
; Occupancy: 6
; WaveLimiterHint : 1
; COMPUTE_PGM_RSRC2:SCRATCH_EN: 0
; COMPUTE_PGM_RSRC2:USER_SGPR: 6
; COMPUTE_PGM_RSRC2:TRAP_HANDLER: 0
; COMPUTE_PGM_RSRC2:TGID_X_EN: 1
; COMPUTE_PGM_RSRC2:TGID_Y_EN: 0
; COMPUTE_PGM_RSRC2:TGID_Z_EN: 0
; COMPUTE_PGM_RSRC2:TIDIG_COMP_CNT: 0
	.text
	.p2alignl 6, 3214868480
	.fill 48, 4, 3214868480
	.type	__hip_cuid_fad7cbe4666e4084,@object ; @__hip_cuid_fad7cbe4666e4084
	.section	.bss,"aw",@nobits
	.globl	__hip_cuid_fad7cbe4666e4084
__hip_cuid_fad7cbe4666e4084:
	.byte	0                               ; 0x0
	.size	__hip_cuid_fad7cbe4666e4084, 1

	.ident	"AMD clang version 19.0.0git (https://github.com/RadeonOpenCompute/llvm-project roc-6.4.0 25133 c7fe45cf4b819c5991fe208aaa96edf142730f1d)"
	.section	".note.GNU-stack","",@progbits
	.addrsig
	.addrsig_sym __hip_cuid_fad7cbe4666e4084
	.amdgpu_metadata
---
amdhsa.kernels:
  - .args:
      - .actual_access:  read_only
        .address_space:  global
        .offset:         0
        .size:           8
        .value_kind:     global_buffer
      - .offset:         8
        .size:           8
        .value_kind:     by_value
      - .actual_access:  read_only
        .address_space:  global
        .offset:         16
        .size:           8
        .value_kind:     global_buffer
      - .actual_access:  read_only
        .address_space:  global
        .offset:         24
        .size:           8
        .value_kind:     global_buffer
      - .actual_access:  read_only
        .address_space:  global
        .offset:         32
        .size:           8
        .value_kind:     global_buffer
      - .offset:         40
        .size:           8
        .value_kind:     by_value
      - .actual_access:  read_only
        .address_space:  global
        .offset:         48
        .size:           8
        .value_kind:     global_buffer
      - .actual_access:  read_only
        .address_space:  global
        .offset:         56
        .size:           8
        .value_kind:     global_buffer
      - .offset:         64
        .size:           4
        .value_kind:     by_value
      - .actual_access:  read_only
        .address_space:  global
        .offset:         72
        .size:           8
        .value_kind:     global_buffer
      - .actual_access:  read_only
        .address_space:  global
        .offset:         80
        .size:           8
        .value_kind:     global_buffer
      - .actual_access:  read_only
        .address_space:  global
        .offset:         88
        .size:           8
        .value_kind:     global_buffer
      - .actual_access:  write_only
        .address_space:  global
        .offset:         96
        .size:           8
        .value_kind:     global_buffer
    .group_segment_fixed_size: 0
    .kernarg_segment_align: 8
    .kernarg_segment_size: 104
    .language:       OpenCL C
    .language_version:
      - 2
      - 0
    .max_flat_workgroup_size: 135
    .name:           fft_rtc_fwd_len2025_factors_3_3_5_5_3_3_wgs_135_tpt_135_halfLds_dp_op_CI_CI_sbrr_dirReg
    .private_segment_fixed_size: 0
    .sgpr_count:     33
    .sgpr_spill_count: 0
    .symbol:         fft_rtc_fwd_len2025_factors_3_3_5_5_3_3_wgs_135_tpt_135_halfLds_dp_op_CI_CI_sbrr_dirReg.kd
    .uniform_work_group_size: 1
    .uses_dynamic_stack: false
    .vgpr_count:     157
    .vgpr_spill_count: 0
    .wavefront_size: 32
    .workgroup_processor_mode: 1
amdhsa.target:   amdgcn-amd-amdhsa--gfx1030
amdhsa.version:
  - 1
  - 2
...

	.end_amdgpu_metadata
